;; amdgpu-corpus repo=LLNL/RAJAPerf kind=compiled arch=gfx906 opt=O3
	.amdgcn_target "amdgcn-amd-amdhsa--gfx906"
	.amdhsa_code_object_version 6
	.section	.text._ZN8rajaperf4apps6edge3dILm256EEEvPdS2_S2_S2_S2_S2_S2_S2_S2_S2_S2_S2_S2_S2_S2_S2_S2_S2_S2_S2_S2_S2_S2_S2_S2_ll,"axG",@progbits,_ZN8rajaperf4apps6edge3dILm256EEEvPdS2_S2_S2_S2_S2_S2_S2_S2_S2_S2_S2_S2_S2_S2_S2_S2_S2_S2_S2_S2_S2_S2_S2_S2_ll,comdat
	.protected	_ZN8rajaperf4apps6edge3dILm256EEEvPdS2_S2_S2_S2_S2_S2_S2_S2_S2_S2_S2_S2_S2_S2_S2_S2_S2_S2_S2_S2_S2_S2_S2_S2_ll ; -- Begin function _ZN8rajaperf4apps6edge3dILm256EEEvPdS2_S2_S2_S2_S2_S2_S2_S2_S2_S2_S2_S2_S2_S2_S2_S2_S2_S2_S2_S2_S2_S2_S2_S2_ll
	.globl	_ZN8rajaperf4apps6edge3dILm256EEEvPdS2_S2_S2_S2_S2_S2_S2_S2_S2_S2_S2_S2_S2_S2_S2_S2_S2_S2_S2_S2_S2_S2_S2_S2_ll
	.p2align	8
	.type	_ZN8rajaperf4apps6edge3dILm256EEEvPdS2_S2_S2_S2_S2_S2_S2_S2_S2_S2_S2_S2_S2_S2_S2_S2_S2_S2_S2_S2_S2_S2_S2_S2_ll,@function
_ZN8rajaperf4apps6edge3dILm256EEEvPdS2_S2_S2_S2_S2_S2_S2_S2_S2_S2_S2_S2_S2_S2_S2_S2_S2_S2_S2_S2_S2_S2_S2_S2_ll: ; @_ZN8rajaperf4apps6edge3dILm256EEEvPdS2_S2_S2_S2_S2_S2_S2_S2_S2_S2_S2_S2_S2_S2_S2_S2_S2_S2_S2_S2_S2_S2_S2_S2_ll
; %bb.0:
	s_mov_b64 s[30:31], s[2:3]
	s_mov_b64 s[28:29], s[0:1]
	s_load_dwordx4 s[0:3], s[4:5], 0xc0
	s_load_dwordx2 s[8:9], s[4:5], 0xd0
	s_add_u32 s28, s28, s7
	s_mov_b32 s7, 0
	s_addc_u32 s29, s29, 0
	s_lshl_b64 s[6:7], s[6:7], 8
	s_waitcnt lgkmcnt(0)
	s_add_u32 s2, s2, s6
	s_addc_u32 s3, s3, s7
	v_mov_b32_e32 v1, s3
	v_add_co_u32_e32 v0, vcc, s2, v0
	v_addc_co_u32_e32 v1, vcc, 0, v1, vcc
	v_cmp_gt_i64_e32 vcc, s[8:9], v[0:1]
	s_and_saveexec_b64 s[2:3], vcc
	s_cbranch_execz .LBB0_10
; %bb.1:
	s_load_dwordx16 s[8:23], s[4:5], 0x0
	s_load_dwordx16 s[36:51], s[4:5], 0x40
	v_lshlrev_b64 v[61:62], 3, v[0:1]
	v_mov_b32_e32 v60, s1
	s_mov_b32 s2, 0x74df99c7
	s_waitcnt lgkmcnt(0)
	v_mov_b32_e32 v1, s11
	v_add_co_u32_e32 v0, vcc, s10, v61
	v_addc_co_u32_e32 v1, vcc, v1, v62, vcc
	v_mov_b32_e32 v3, s13
	v_add_co_u32_e32 v2, vcc, s12, v61
	v_addc_co_u32_e32 v3, vcc, v3, v62, vcc
	;; [unrolled: 3-line block ×13, first 2 shown]
	s_load_dwordx16 s[12:27], s[4:5], 0x80
	v_mov_b32_e32 v27, s49
	v_add_co_u32_e32 v26, vcc, s48, v61
	v_addc_co_u32_e32 v27, vcc, v27, v62, vcc
	v_mov_b32_e32 v29, s51
	v_add_co_u32_e32 v28, vcc, s50, v61
	v_addc_co_u32_e32 v29, vcc, v29, v62, vcc
	s_waitcnt lgkmcnt(0)
	v_mov_b32_e32 v31, s13
	v_add_co_u32_e32 v30, vcc, s12, v61
	v_addc_co_u32_e32 v31, vcc, v31, v62, vcc
	global_load_dwordx2 v[0:1], v[0:1], off
	s_mov_b32 s3, 0x3fcb0cb1
	global_load_dwordx2 v[2:3], v[2:3], off
	s_mov_b32 s4, 0x4ad4b81f
	;; [unrolled: 2-line block ×3, first 2 shown]
	global_load_dwordx2 v[6:7], v[6:7], off
	v_mov_b32_e32 v96, 0
	global_load_dwordx2 v[8:9], v[8:9], off
	v_mov_b32_e32 v78, 0
	;; [unrolled: 2-line block ×4, first 2 shown]
	global_load_dwordx2 v[14:15], v[14:15], off
	s_nop 0
	global_load_dwordx2 v[32:33], v[18:19], off
	global_load_dwordx2 v[34:35], v[26:27], off
	;; [unrolled: 1-line block ×8, first 2 shown]
	v_mov_b32_e32 v17, s15
	v_add_co_u32_e32 v16, vcc, s14, v61
	v_addc_co_u32_e32 v17, vcc, v17, v62, vcc
	v_mov_b32_e32 v19, s17
	v_add_co_u32_e32 v18, vcc, s16, v61
	v_addc_co_u32_e32 v19, vcc, v19, v62, vcc
	v_mov_b32_e32 v21, s19
	v_add_co_u32_e32 v20, vcc, s18, v61
	v_addc_co_u32_e32 v21, vcc, v21, v62, vcc
	v_mov_b32_e32 v23, s21
	v_add_co_u32_e32 v22, vcc, s20, v61
	v_addc_co_u32_e32 v23, vcc, v23, v62, vcc
	v_mov_b32_e32 v25, s23
	v_add_co_u32_e32 v24, vcc, s22, v61
	v_addc_co_u32_e32 v25, vcc, v25, v62, vcc
	v_mov_b32_e32 v27, s25
	v_add_co_u32_e32 v26, vcc, s24, v61
	v_addc_co_u32_e32 v27, vcc, v27, v62, vcc
	v_mov_b32_e32 v29, s27
	v_add_co_u32_e32 v28, vcc, s26, v61
	v_addc_co_u32_e32 v29, vcc, v29, v62, vcc
	global_load_dwordx2 v[30:31], v[18:19], off
	global_load_dwordx2 v[48:49], v[26:27], off
	;; [unrolled: 1-line block ×7, first 2 shown]
	v_add_co_u32_e32 v16, vcc, s0, v61
	buffer_store_dword v61, off, s[28:31], 0 offset:632 ; 4-byte Folded Spill
	s_nop 0
	buffer_store_dword v62, off, s[28:31], 0 offset:636 ; 4-byte Folded Spill
	v_mov_b32_e32 v24, 0
	v_mov_b32_e32 v28, 0
	;; [unrolled: 1-line block ×31, first 2 shown]
	s_waitcnt vmcnt(21)
	v_add_f64 v[66:67], v[6:7], -v[0:1]
	v_add_f64 v[64:65], v[4:5], -v[6:7]
	v_mov_b32_e32 v130, 0
	v_mov_b32_e32 v142, 0
	s_waitcnt vmcnt(19)
	v_add_f64 v[18:19], v[10:11], -v[2:3]
	v_add_f64 v[68:69], v[10:11], -v[8:9]
	s_waitcnt vmcnt(18)
	v_add_f64 v[10:11], v[12:13], -v[10:11]
	v_mov_b32_e32 v158, 0
	s_waitcnt vmcnt(17)
	v_add_f64 v[70:71], v[14:15], -v[8:9]
	v_mov_b32_e32 v166, 0
	v_mov_b32_e32 v174, 0
	;; [unrolled: 1-line block ×38, first 2 shown]
	v_addc_co_u32_e32 v17, vcc, v60, v62, vcc
	v_add_f64 v[60:61], v[2:3], -v[0:1]
	v_add_f64 v[62:63], v[4:5], -v[2:3]
	;; [unrolled: 1-line block ×3, first 2 shown]
	global_load_dwordx2 v[16:17], v[16:17], off
	s_nop 0
	buffer_store_dword v18, off, s[28:31], 0 offset:536 ; 4-byte Folded Spill
	s_nop 0
	buffer_store_dword v19, off, s[28:31], 0 offset:540 ; 4-byte Folded Spill
	buffer_store_dword v2, off, s[28:31], 0 offset:544 ; 4-byte Folded Spill
	s_nop 0
	buffer_store_dword v3, off, s[28:31], 0 offset:548 ; 4-byte Folded Spill
	v_add_f64 v[2:3], v[8:9], -v[0:1]
	v_add_f64 v[0:1], v[14:15], -v[6:7]
	buffer_store_dword v2, off, s[28:31], 0 offset:552 ; 4-byte Folded Spill
	s_nop 0
	buffer_store_dword v3, off, s[28:31], 0 offset:556 ; 4-byte Folded Spill
	buffer_store_dword v0, off, s[28:31], 0 offset:560 ; 4-byte Folded Spill
	s_nop 0
	buffer_store_dword v1, off, s[28:31], 0 offset:564 ; 4-byte Folded Spill
	s_waitcnt vmcnt(24)
	v_add_f64 v[0:1], v[34:35], -v[32:33]
	buffer_store_dword v0, off, s[28:31], 0 offset:568 ; 4-byte Folded Spill
	s_nop 0
	buffer_store_dword v1, off, s[28:31], 0 offset:572 ; 4-byte Folded Spill
	s_waitcnt vmcnt(23)
	v_add_f64 v[0:1], v[40:41], -v[38:39]
	;; [unrolled: 5-line block ×8, first 2 shown]
	v_add_f64 v[8:9], v[12:13], -v[14:15]
	v_add_f64 v[12:13], v[32:33], -v[36:37]
	;; [unrolled: 1-line block ×16, first 2 shown]
	v_mov_b32_e32 v54, 0
	v_mov_b32_e32 v244, 0
	v_add_f64 v[58:59], v[16:17], -v[58:59]
	s_mov_b64 s[0:1], -1
	s_mov_b32 s5, 0x358dee7a
	s_mov_b32 s7, 0x3fe93cd3
	v_mov_b32_e32 v97, 0
	v_mov_b32_e32 v25, 0
	;; [unrolled: 1-line block ×78, first 2 shown]
	s_mov_b64 s[10:11], s[2:3]
	buffer_store_dword v0, off, s[28:31], 0 offset:624 ; 4-byte Folded Spill
	s_nop 0
	buffer_store_dword v1, off, s[28:31], 0 offset:628 ; 4-byte Folded Spill
	buffer_store_dword v60, off, s[28:31], 0 offset:344 ; 4-byte Folded Spill
	s_nop 0
	buffer_store_dword v61, off, s[28:31], 0 offset:348 ; 4-byte Folded Spill
	;; [unrolled: 3-line block ×25, first 2 shown]
.LBB0_2:                                ; =>This Loop Header: Depth=1
                                        ;     Child Loop BB0_3 Depth 2
                                        ;       Child Loop BB0_4 Depth 3
	v_add_f64 v[74:75], -s[10:11], 1.0
	s_xor_b64 s[12:13], s[0:1], -1
	s_mov_b64 s[0:1], -1
	s_mov_b64 s[14:15], s[2:3]
.LBB0_3:                                ;   Parent Loop BB0_2 Depth=1
                                        ; =>  This Loop Header: Depth=2
                                        ;       Child Loop BB0_4 Depth 3
	s_waitcnt vmcnt(7)
	buffer_store_dword v88, off, s[28:31], 0 offset:40 ; 4-byte Folded Spill
	s_waitcnt vmcnt(7)
	buffer_store_dword v89, off, s[28:31], 0 offset:44 ; 4-byte Folded Spill
	buffer_store_dword v86, off, s[28:31], 0 offset:32 ; 4-byte Folded Spill
	s_nop 0
	buffer_store_dword v87, off, s[28:31], 0 offset:36 ; 4-byte Folded Spill
	buffer_store_dword v156, off, s[28:31], 0 offset:24 ; 4-byte Folded Spill
	s_nop 0
	buffer_store_dword v157, off, s[28:31], 0 offset:28 ; 4-byte Folded Spill
	s_waitcnt vmcnt(11)
	buffer_store_dword v152, off, s[28:31], 0 offset:16 ; 4-byte Folded Spill
	s_waitcnt vmcnt(11)
	;; [unrolled: 2-line block ×5, first 2 shown]
	buffer_store_dword v80, off, s[28:31], 0 ; 4-byte Folded Spill
	s_waitcnt vmcnt(11)
	buffer_store_dword v81, off, s[28:31], 0 offset:4 ; 4-byte Folded Spill
	buffer_load_dword v0, off, s[28:31], 0 offset:536 ; 4-byte Folded Reload
	buffer_load_dword v1, off, s[28:31], 0 offset:540 ; 4-byte Folded Reload
	;; [unrolled: 1-line block ×4, first 2 shown]
	v_add_f64 v[76:77], -s[14:15], 1.0
	buffer_load_dword v4, off, s[28:31], 0 offset:600 ; 4-byte Folded Reload
	buffer_load_dword v5, off, s[28:31], 0 offset:604 ; 4-byte Folded Reload
	s_mov_b64 s[20:21], -1
	s_xor_b64 s[16:17], s[0:1], -1
	s_mov_b64 s[18:19], s[2:3]
	v_mul_f64 v[6:7], s[10:11], v[76:77]
	v_mul_f64 v[14:15], v[74:75], v[76:77]
	s_waitcnt vmcnt(4)
	v_mul_f64 v[0:1], v[0:1], v[6:7]
	s_waitcnt vmcnt(2)
	v_mul_f64 v[2:3], v[2:3], v[6:7]
	buffer_store_dword v6, off, s[28:31], 0 offset:320 ; 4-byte Folded Spill
	s_nop 0
	buffer_store_dword v7, off, s[28:31], 0 offset:324 ; 4-byte Folded Spill
	s_waitcnt vmcnt(2)
	v_mul_f64 v[4:5], v[4:5], v[6:7]
	v_mov_b32_e32 v6, s14
	v_mov_b32_e32 v7, s15
	v_mul_f64 v[16:17], s[10:11], v[6:7]
	buffer_load_dword v6, off, s[28:31], 0 offset:552 ; 4-byte Folded Reload
	buffer_load_dword v7, off, s[28:31], 0 offset:556 ; 4-byte Folded Reload
	s_waitcnt vmcnt(0)
	v_fma_f64 v[0:1], v[6:7], v[14:15], v[0:1]
	buffer_load_dword v6, off, s[28:31], 0 offset:584 ; 4-byte Folded Reload
	buffer_load_dword v7, off, s[28:31], 0 offset:588 ; 4-byte Folded Reload
	s_waitcnt vmcnt(0)
	v_fma_f64 v[2:3], v[6:7], v[14:15], v[2:3]
	;; [unrolled: 4-line block ×3, first 2 shown]
	buffer_load_dword v6, off, s[28:31], 0 offset:544 ; 4-byte Folded Reload
	buffer_load_dword v7, off, s[28:31], 0 offset:548 ; 4-byte Folded Reload
	v_mul_f64 v[14:15], v[74:75], s[14:15]
	s_waitcnt vmcnt(0)
	v_fma_f64 v[0:1], v[6:7], v[16:17], v[0:1]
	buffer_load_dword v6, off, s[28:31], 0 offset:576 ; 4-byte Folded Reload
	buffer_load_dword v7, off, s[28:31], 0 offset:580 ; 4-byte Folded Reload
	s_waitcnt vmcnt(0)
	v_fma_f64 v[2:3], v[6:7], v[16:17], v[2:3]
	buffer_load_dword v6, off, s[28:31], 0 offset:608 ; 4-byte Folded Reload
	buffer_load_dword v7, off, s[28:31], 0 offset:612 ; 4-byte Folded Reload
	s_nop 0
	buffer_store_dword v16, off, s[28:31], 0 offset:328 ; 4-byte Folded Spill
	s_nop 0
	buffer_store_dword v17, off, s[28:31], 0 offset:332 ; 4-byte Folded Spill
	s_waitcnt vmcnt(2)
	v_fma_f64 v[4:5], v[6:7], v[16:17], v[4:5]
	buffer_load_dword v6, off, s[28:31], 0 offset:560 ; 4-byte Folded Reload
	buffer_load_dword v7, off, s[28:31], 0 offset:564 ; 4-byte Folded Reload
	s_waitcnt vmcnt(0)
	v_fma_f64 v[86:87], v[6:7], v[14:15], v[0:1]
	buffer_load_dword v0, off, s[28:31], 0 offset:592 ; 4-byte Folded Reload
	buffer_load_dword v1, off, s[28:31], 0 offset:596 ; 4-byte Folded Reload
	;; [unrolled: 4-line block ×3, first 2 shown]
	s_nop 0
	buffer_store_dword v14, off, s[28:31], 0 offset:336 ; 4-byte Folded Spill
	s_nop 0
	buffer_store_dword v15, off, s[28:31], 0 offset:340 ; 4-byte Folded Spill
	s_waitcnt vmcnt(2)
	v_fma_f64 v[90:91], v[0:1], v[14:15], v[4:5]
.LBB0_4:                                ;   Parent Loop BB0_2 Depth=1
                                        ;     Parent Loop BB0_3 Depth=2
                                        ; =>    This Inner Loop Header: Depth=3
	v_cndmask_b32_e64 v0, 0, 1, s[20:21]
	v_cmp_ne_u32_e64 s[0:1], 1, v0
	v_add_f64 v[0:1], -s[18:19], 1.0
	buffer_store_dword v148, off, s[28:31], 0 offset:312 ; 4-byte Folded Spill
	s_nop 0
	buffer_store_dword v149, off, s[28:31], 0 offset:316 ; 4-byte Folded Spill
	buffer_store_dword v114, off, s[28:31], 0 offset:304 ; 4-byte Folded Spill
	s_nop 0
	buffer_store_dword v115, off, s[28:31], 0 offset:308 ; 4-byte Folded Spill
	;; [unrolled: 3-line block ×34, first 2 shown]
	v_mov_b32_e32 v2, s18
	v_mov_b32_e32 v3, s19
	v_mul_f64 v[18:19], s[10:11], v[2:3]
	v_mul_f64 v[20:21], s[14:15], v[2:3]
	;; [unrolled: 1-line block ×8, first 2 shown]
	v_mov_b32_e32 v161, v143
	v_mov_b32_e32 v160, v142
	;; [unrolled: 1-line block ×4, first 2 shown]
	s_waitcnt vmcnt(62)
	v_mul_f64 v[2:3], v[64:65], v[26:27]
	v_mul_f64 v[4:5], v[38:39], v[26:27]
	;; [unrolled: 1-line block ×3, first 2 shown]
	v_mov_b32_e32 v151, v141
	v_mov_b32_e32 v150, v140
	;; [unrolled: 1-line block ×4, first 2 shown]
	v_fma_f64 v[2:3], v[60:61], v[16:17], v[2:3]
	v_fma_f64 v[4:5], v[12:13], v[16:17], v[4:5]
	v_fma_f64 v[6:7], v[40:41], v[16:17], v[6:7]
	v_mul_f64 v[12:13], v[50:51], v[14:15]
	v_fma_f64 v[2:3], v[68:69], v[22:23], v[2:3]
	v_fma_f64 v[4:5], v[42:43], v[22:23], v[4:5]
	;; [unrolled: 1-line block ×5, first 2 shown]
	v_mul_f64 v[8:9], v[66:67], v[14:15]
	v_fma_f64 v[6:7], v[72:73], v[20:21], v[6:7]
	v_fma_f64 v[12:13], v[58:59], v[24:25], v[12:13]
	;; [unrolled: 1-line block ×5, first 2 shown]
	v_mul_f64 v[48:49], v[88:89], v[2:3]
	v_fma_f64 v[8:9], v[70:71], v[24:25], v[8:9]
	v_mul_f64 v[30:31], v[4:5], v[12:13]
	v_fma_f64 v[48:49], v[86:87], v[4:5], -v[48:49]
	v_fma_f64 v[8:9], v[10:11], v[18:19], v[8:9]
	v_mul_f64 v[10:11], v[36:37], v[14:15]
	v_mul_f64 v[36:37], v[8:9], v[4:5]
	v_fma_f64 v[10:11], v[32:33], v[28:29], v[10:11]
	v_fma_f64 v[10:11], v[44:45], v[24:25], v[10:11]
	;; [unrolled: 1-line block ×3, first 2 shown]
	v_mul_f64 v[32:33], v[10:11], v[6:7]
	v_mul_f64 v[38:39], v[2:3], v[10:11]
	;; [unrolled: 1-line block ×4, first 2 shown]
	v_fma_f64 v[32:33], v[4:5], v[12:13], -v[32:33]
	v_fma_f64 v[46:47], v[88:89], v[8:9], -v[46:47]
	;; [unrolled: 1-line block ×3, first 2 shown]
	v_mul_f64 v[34:35], v[8:9], v[6:7]
	v_fma_f64 v[30:31], v[88:89], v[34:35], v[30:31]
	v_mul_f64 v[34:35], v[2:3], v[12:13]
	v_fma_f64 v[30:31], -v[88:89], v[34:35], v[30:31]
	v_fma_f64 v[34:35], v[8:9], v[6:7], -v[34:35]
	v_fma_f64 v[30:31], -v[90:91], v[36:37], v[30:31]
	v_fma_f64 v[36:37], v[2:3], v[10:11], -v[36:37]
	v_fma_f64 v[248:249], v[90:91], v[38:39], v[30:31]
	v_add_f64 v[30:31], v[248:249], s[4:5]
	v_div_scale_f64 v[38:39], s[20:21], v[30:31], v[30:31], 1.0
	v_rcp_f64_e32 v[40:41], v[38:39]
	v_fma_f64 v[42:43], -v[38:39], v[40:41], 1.0
	v_fma_f64 v[40:41], v[40:41], v[42:43], v[40:41]
	v_fma_f64 v[42:43], -v[38:39], v[40:41], 1.0
	v_fma_f64 v[40:41], v[40:41], v[42:43], v[40:41]
	v_div_scale_f64 v[42:43], vcc, 1.0, v[30:31], 1.0
	v_mul_f64 v[44:45], v[42:43], v[40:41]
	v_fma_f64 v[38:39], -v[38:39], v[44:45], v[42:43]
	v_mul_f64 v[42:43], v[90:91], v[8:9]
	s_nop 0
	v_div_fmas_f64 v[38:39], v[38:39], v[40:41], v[44:45]
	v_mul_f64 v[40:41], v[90:91], v[4:5]
	v_mul_f64 v[44:45], v[86:87], v[6:7]
	v_fma_f64 v[42:43], v[86:87], v[12:13], -v[42:43]
	v_fma_f64 v[40:41], v[88:89], v[6:7], -v[40:41]
	;; [unrolled: 1-line block ×3, first 2 shown]
	v_div_fixup_f64 v[30:31], v[38:39], v[30:31], 1.0
	v_mul_f64 v[38:39], v[88:89], v[12:13]
	v_mul_f64 v[40:41], v[40:41], v[30:31]
	v_fma_f64 v[38:39], v[90:91], v[10:11], -v[38:39]
	v_mul_f64 v[32:33], v[32:33], v[30:31]
	v_mul_f64 v[44:45], v[44:45], v[30:31]
	v_mul_f64 v[42:43], v[42:43], v[30:31]
	v_mul_f64 v[34:35], v[34:35], v[30:31]
	v_mul_f64 v[48:49], v[48:49], v[30:31]
	v_mul_f64 v[46:47], v[46:47], v[30:31]
	v_mul_f64 v[50:51], v[40:41], 0
	v_mul_f64 v[38:39], v[38:39], v[30:31]
	v_mul_f64 v[30:31], v[36:37], v[30:31]
	v_add_f64 v[36:37], |v[248:249]|, s[4:5]
	v_ldexp_f64 v[248:249], |v[248:249]|, -3
	v_fma_f64 v[52:53], v[16:17], v[38:39], v[50:51]
	v_fma_f64 v[142:143], v[32:33], 0, v[52:53]
	v_mul_f64 v[52:53], v[44:45], 0
	v_fma_f64 v[54:55], v[16:17], v[42:43], v[52:53]
	v_fma_f64 v[146:147], v[34:35], 0, v[54:55]
	v_mul_f64 v[54:55], v[48:49], 0
	v_fma_f64 v[16:17], v[16:17], v[46:47], v[54:55]
	v_fma_f64 v[144:145], v[30:31], 0, v[16:17]
	;; [unrolled: 1-line block ×20, first 2 shown]
	v_mul_f64 v[16:17], v[38:39], 0
	v_fma_f64 v[20:21], v[14:15], v[40:41], v[16:17]
	v_fma_f64 v[118:119], v[32:33], 0, v[20:21]
	v_mul_f64 v[20:21], v[42:43], 0
	v_fma_f64 v[22:23], v[14:15], v[44:45], v[20:21]
	v_fma_f64 v[122:123], v[34:35], 0, v[22:23]
	;; [unrolled: 3-line block ×3, first 2 shown]
	v_fma_f64 v[14:15], v[28:29], v[40:41], v[16:17]
	v_fma_f64 v[110:111], v[32:33], 0, v[14:15]
	;; [unrolled: 1-line block ×16, first 2 shown]
	v_mul_f64 v[20:21], v[74:75], v[76:77]
	v_fma_f64 v[96:97], v[34:35], 0, v[14:15]
	v_fma_f64 v[14:15], v[18:19], v[48:49], v[22:23]
	;; [unrolled: 1-line block ×8, first 2 shown]
	buffer_load_dword v20, off, s[28:31], 0 offset:320 ; 4-byte Folded Reload
	buffer_load_dword v21, off, s[28:31], 0 offset:324 ; 4-byte Folded Reload
	s_waitcnt vmcnt(0)
	v_fma_f64 v[66:67], v[20:21], v[32:33], v[14:15]
	v_fma_f64 v[70:71], v[20:21], v[34:35], v[16:17]
	;; [unrolled: 1-line block ×3, first 2 shown]
	buffer_load_dword v20, off, s[28:31], 0 offset:336 ; 4-byte Folded Reload
	buffer_load_dword v21, off, s[28:31], 0 offset:340 ; 4-byte Folded Reload
	s_waitcnt vmcnt(0)
	v_fma_f64 v[52:53], v[20:21], v[32:33], v[14:15]
	v_fma_f64 v[58:59], v[20:21], v[34:35], v[16:17]
	;; [unrolled: 1-line block ×3, first 2 shown]
	buffer_load_dword v20, off, s[28:31], 0 offset:328 ; 4-byte Folded Reload
	buffer_load_dword v21, off, s[28:31], 0 offset:332 ; 4-byte Folded Reload
	s_waitcnt vmcnt(0)
	v_fma_f64 v[42:43], v[20:21], v[32:33], v[14:15]
	v_div_scale_f64 v[14:15], s[20:21], v[36:37], v[36:37], 1.0
	v_fma_f64 v[48:49], v[20:21], v[34:35], v[16:17]
	v_fma_f64 v[44:45], v[20:21], v[30:31], v[18:19]
	s_mov_b64 s[20:21], 0
	v_rcp_f64_e32 v[16:17], v[14:15]
	v_fma_f64 v[18:19], -v[14:15], v[16:17], 1.0
	v_fma_f64 v[16:17], v[16:17], v[18:19], v[16:17]
	v_fma_f64 v[18:19], -v[14:15], v[16:17], 1.0
	v_fma_f64 v[16:17], v[16:17], v[18:19], v[16:17]
	v_div_scale_f64 v[18:19], vcc, 1.0, v[36:37], 1.0
	v_mul_f64 v[20:21], v[18:19], v[16:17]
	v_fma_f64 v[14:15], -v[14:15], v[20:21], v[18:19]
	s_nop 1
	v_div_fmas_f64 v[14:15], v[14:15], v[16:17], v[20:21]
	s_and_b64 vcc, exec, s[0:1]
	v_div_fixup_f64 v[14:15], v[14:15], v[36:37], 1.0
	v_mul_f64 v[56:57], v[2:3], v[14:15]
	v_mul_f64 v[2:3], v[8:9], v[14:15]
	v_mul_f64 v[154:155], v[86:87], v[14:15]
	v_mul_f64 v[156:157], v[4:5], v[14:15]
	v_mul_f64 v[4:5], v[10:11], v[14:15]
	v_mul_f64 v[162:163], v[88:89], v[14:15]
	v_mul_f64 v[170:171], v[6:7], v[14:15]
	v_mul_f64 v[6:7], v[12:13], v[14:15]
	v_mul_f64 v[8:9], v[56:57], 0
	v_mul_f64 v[148:149], v[90:91], v[14:15]
	v_mul_f64 v[12:13], v[2:3], -v[76:77]
	v_mul_f64 v[184:185], v[2:3], -s[14:15]
	v_mul_f64 v[26:27], v[76:77], v[2:3]
	v_mul_f64 v[220:221], s[14:15], v[2:3]
	v_mul_f64 v[16:17], v[4:5], -v[76:77]
	v_mul_f64 v[188:189], v[4:5], -s[14:15]
	v_fma_f64 v[10:11], v[2:3], -v[76:77], v[8:9]
	v_mul_f64 v[32:33], v[76:77], v[4:5]
	v_mul_f64 v[226:227], s[14:15], v[4:5]
	;; [unrolled: 1-line block ×3, first 2 shown]
	v_mul_f64 v[176:177], v[6:7], -v[76:77]
	v_mul_f64 v[200:201], v[6:7], -s[14:15]
	v_mul_f64 v[208:209], v[76:77], v[6:7]
	v_mul_f64 v[250:251], s[14:15], v[6:7]
	v_fma_f64 v[106:107], v[0:1], v[154:155], v[10:11]
	v_mul_f64 v[10:11], v[156:157], 0
	v_fma_f64 v[14:15], v[4:5], -v[76:77], v[10:11]
	v_fma_f64 v[114:115], v[0:1], v[162:163], v[14:15]
	v_mul_f64 v[14:15], v[170:171], 0
	v_fma_f64 v[18:19], v[6:7], -v[76:77], v[14:15]
	v_fma_f64 v[108:109], v[0:1], v[148:149], v[18:19]
	v_fma_f64 v[18:19], v[2:3], -s[14:15], v[8:9]
	v_fma_f64 v[82:83], -v[154:155], v[0:1], v[18:19]
	v_fma_f64 v[18:19], v[4:5], -s[14:15], v[10:11]
	v_fma_f64 v[98:99], -v[162:163], v[0:1], v[18:19]
	;; [unrolled: 2-line block ×3, first 2 shown]
	v_fma_f64 v[18:19], v[76:77], v[2:3], v[8:9]
	v_fma_f64 v[8:9], s[14:15], v[2:3], v[8:9]
	v_mul_f64 v[2:3], v[2:3], 0
	v_fma_f64 v[38:39], s[18:19], v[154:155], v[18:19]
	v_fma_f64 v[28:29], -v[154:155], s[18:19], v[8:9]
	v_fma_f64 v[8:9], s[14:15], v[4:5], v[10:11]
	v_fma_f64 v[18:19], v[76:77], v[4:5], v[10:11]
	v_fma_f64 v[34:35], -v[162:163], s[18:19], v[8:9]
	v_fma_f64 v[8:9], s[14:15], v[6:7], v[14:15]
	v_fma_f64 v[62:63], s[18:19], v[162:163], v[18:19]
	;; [unrolled: 1-line block ×3, first 2 shown]
	v_fma_f64 v[30:31], -v[148:149], s[18:19], v[8:9]
	v_fma_f64 v[8:9], v[74:75], v[56:57], v[2:3]
	v_fma_f64 v[46:47], s[18:19], v[148:149], v[18:19]
	v_fma_f64 v[20:21], v[154:155], -v[0:1], v[8:9]
	v_mul_f64 v[8:9], v[4:5], 0
	v_fma_f64 v[4:5], v[74:75], v[156:157], v[8:9]
	v_fma_f64 v[24:25], v[162:163], -v[0:1], v[4:5]
	v_fma_f64 v[4:5], v[74:75], v[170:171], v[36:37]
	v_fma_f64 v[22:23], v[148:149], -v[0:1], v[4:5]
	v_fma_f64 v[4:5], s[10:11], v[56:57], v[2:3]
	v_fma_f64 v[10:11], v[0:1], v[154:155], v[4:5]
	v_fma_f64 v[4:5], s[10:11], v[156:157], v[8:9]
	v_fma_f64 v[18:19], v[0:1], v[162:163], v[4:5]
	v_fma_f64 v[4:5], s[10:11], v[170:171], v[36:37]
	v_fma_f64 v[14:15], v[0:1], v[148:149], v[4:5]
	v_fma_f64 v[0:1], -v[56:57], v[74:75], v[2:3]
	v_fma_f64 v[64:65], v[154:155], -s[18:19], v[0:1]
	v_fma_f64 v[0:1], -v[156:157], v[74:75], v[8:9]
	v_fma_f64 v[6:7], v[162:163], -s[18:19], v[0:1]
	;; [unrolled: 2-line block ×4, first 2 shown]
	v_fma_f64 v[40:41], s[18:19], v[154:155], v[0:1]
	v_fma_f64 v[0:1], -v[156:157], s[10:11], v[8:9]
	v_fma_f64 v[16:17], v[162:163], 0, v[2:3]
	v_fma_f64 v[2:3], v[170:171], -s[10:11], v[176:177]
	v_fma_f64 v[60:61], s[18:19], v[162:163], v[0:1]
	v_fma_f64 v[0:1], -v[170:171], s[10:11], v[36:37]
	v_fma_f64 v[8:9], v[148:149], 0, v[2:3]
	v_fma_f64 v[2:3], v[74:75], v[56:57], v[220:221]
	;; [unrolled: 1-line block ×3, first 2 shown]
	v_fma_f64 v[0:1], v[56:57], -v[74:75], v[26:27]
	v_fma_f64 v[252:253], v[154:155], 0, v[2:3]
	v_fma_f64 v[2:3], v[74:75], v[156:157], v[226:227]
	s_mov_b64 s[18:19], s[6:7]
	v_fma_f64 v[26:27], v[154:155], 0, v[0:1]
	v_fma_f64 v[0:1], v[156:157], -v[74:75], v[32:33]
	v_fma_f64 v[2:3], v[162:163], 0, v[2:3]
	v_fma_f64 v[36:37], v[162:163], 0, v[0:1]
	v_fma_f64 v[0:1], v[170:171], -v[74:75], v[208:209]
	v_fma_f64 v[32:33], v[148:149], 0, v[0:1]
	v_fma_f64 v[0:1], v[56:57], -s[10:11], v[12:13]
	v_fma_f64 v[12:13], v[74:75], v[170:171], v[250:251]
	v_fma_f64 v[0:1], v[154:155], 0, v[0:1]
	v_fma_f64 v[254:255], v[148:149], 0, v[12:13]
	v_fma_f64 v[12:13], s[10:11], v[56:57], v[184:185]
	v_fma_f64 v[56:57], s[10:11], v[156:157], v[188:189]
	v_fma_f64 v[12:13], v[154:155], 0, v[12:13]
	v_fma_f64 v[154:155], s[10:11], v[170:171], v[200:201]
	v_fma_f64 v[56:57], v[162:163], 0, v[56:57]
	v_fma_f64 v[250:251], v[148:149], 0, v[154:155]
	v_mul_f64 v[148:149], v[146:147], v[146:147]
	v_fma_f64 v[148:149], v[142:143], v[142:143], v[148:149]
	v_fma_f64 v[148:149], v[144:145], v[144:145], v[148:149]
	v_fma_f64 v[244:245], v[248:249], v[148:149], v[244:245]
	v_mul_f64 v[148:149], v[146:147], v[140:141]
	v_fma_f64 v[148:149], v[142:143], v[136:137], v[148:149]
	v_fma_f64 v[148:149], v[144:145], v[138:139], v[148:149]
	v_fma_f64 v[242:243], v[248:249], v[148:149], v[242:243]
	;; [unrolled: 4-line block ×10, first 2 shown]
	v_mul_f64 v[148:149], v[146:147], v[58:59]
	v_mul_f64 v[146:147], v[146:147], v[48:49]
	v_fma_f64 v[148:149], v[142:143], v[52:53], v[148:149]
	v_fma_f64 v[142:143], v[142:143], v[42:43], v[146:147]
	buffer_load_dword v146, off, s[28:31], 0 offset:32 ; 4-byte Folded Reload
	buffer_load_dword v147, off, s[28:31], 0 offset:36 ; 4-byte Folded Reload
	v_fma_f64 v[148:149], v[144:145], v[54:55], v[148:149]
	v_fma_f64 v[142:143], v[144:145], v[44:45], v[142:143]
	v_mul_f64 v[144:145], v[140:141], v[140:141]
	v_fma_f64 v[196:197], v[248:249], v[148:149], v[196:197]
	buffer_load_dword v148, off, s[28:31], 0 offset:24 ; 4-byte Folded Reload
	buffer_load_dword v149, off, s[28:31], 0 offset:28 ; 4-byte Folded Reload
	v_fma_f64 v[144:145], v[136:137], v[136:137], v[144:145]
	v_fma_f64 v[142:143], v[248:249], v[142:143], v[246:247]
	;; [unrolled: 1-line block ×3, first 2 shown]
	s_waitcnt vmcnt(2)
	v_fma_f64 v[144:145], v[248:249], v[144:145], v[146:147]
	v_mul_f64 v[146:147], v[140:141], v[134:135]
	v_fma_f64 v[146:147], v[136:137], v[130:131], v[146:147]
	v_fma_f64 v[146:147], v[138:139], v[132:133], v[146:147]
	s_waitcnt vmcnt(0)
	v_fma_f64 v[146:147], v[248:249], v[146:147], v[148:149]
	v_mul_f64 v[148:149], v[140:141], v[128:129]
	v_fma_f64 v[148:149], v[136:137], v[124:125], v[148:149]
	v_fma_f64 v[148:149], v[138:139], v[126:127], v[148:149]
	v_fma_f64 v[228:229], v[248:249], v[148:149], v[228:229]
	v_mul_f64 v[148:149], v[140:141], v[122:123]
	v_fma_f64 v[148:149], v[136:137], v[118:119], v[148:149]
	v_fma_f64 v[148:149], v[138:139], v[120:121], v[148:149]
	;; [unrolled: 4-line block ×7, first 2 shown]
	v_fma_f64 v[186:187], v[248:249], v[148:149], v[186:187]
	v_mul_f64 v[148:149], v[140:141], v[58:59]
	v_mul_f64 v[140:141], v[140:141], v[48:49]
	v_fma_f64 v[148:149], v[136:137], v[52:53], v[148:149]
	v_fma_f64 v[136:137], v[136:137], v[42:43], v[140:141]
	buffer_load_dword v140, off, s[28:31], 0 offset:40 ; 4-byte Folded Reload
	buffer_load_dword v141, off, s[28:31], 0 offset:44 ; 4-byte Folded Reload
	v_fma_f64 v[148:149], v[138:139], v[54:55], v[148:149]
	v_fma_f64 v[136:137], v[138:139], v[44:45], v[136:137]
	v_mul_f64 v[138:139], v[134:135], v[134:135]
	v_fma_f64 v[178:179], v[248:249], v[148:149], v[178:179]
	buffer_load_dword v148, off, s[28:31], 0 offset:16 ; 4-byte Folded Reload
	buffer_load_dword v149, off, s[28:31], 0 offset:20 ; 4-byte Folded Reload
	v_fma_f64 v[138:139], v[130:131], v[130:131], v[138:139]
	v_fma_f64 v[136:137], v[248:249], v[136:137], v[232:233]
	;; [unrolled: 1-line block ×3, first 2 shown]
	s_waitcnt vmcnt(2)
	v_fma_f64 v[138:139], v[248:249], v[138:139], v[140:141]
	v_mul_f64 v[140:141], v[134:135], v[128:129]
	v_fma_f64 v[140:141], v[130:131], v[124:125], v[140:141]
	v_fma_f64 v[140:141], v[132:133], v[126:127], v[140:141]
	s_waitcnt vmcnt(0)
	v_fma_f64 v[140:141], v[248:249], v[140:141], v[148:149]
	v_mul_f64 v[148:149], v[134:135], v[122:123]
	v_fma_f64 v[148:149], v[130:131], v[118:119], v[148:149]
	v_fma_f64 v[148:149], v[132:133], v[120:121], v[148:149]
	v_fma_f64 v[214:215], v[248:249], v[148:149], v[214:215]
	v_mul_f64 v[148:149], v[134:135], v[116:117]
	v_fma_f64 v[148:149], v[130:131], v[110:111], v[148:149]
	v_fma_f64 v[148:149], v[132:133], v[112:113], v[148:149]
	;; [unrolled: 4-line block ×6, first 2 shown]
	v_fma_f64 v[172:173], v[248:249], v[148:149], v[172:173]
	v_mul_f64 v[148:149], v[134:135], v[58:59]
	v_mul_f64 v[134:135], v[134:135], v[48:49]
	v_fma_f64 v[148:149], v[130:131], v[52:53], v[148:149]
	v_fma_f64 v[130:131], v[130:131], v[42:43], v[134:135]
	buffer_load_dword v134, off, s[28:31], 0 offset:8 ; 4-byte Folded Reload
	buffer_load_dword v135, off, s[28:31], 0 offset:12 ; 4-byte Folded Reload
	v_fma_f64 v[148:149], v[132:133], v[54:55], v[148:149]
	v_fma_f64 v[130:131], v[132:133], v[44:45], v[130:131]
	v_mul_f64 v[132:133], v[128:129], v[128:129]
	v_fma_f64 v[164:165], v[248:249], v[148:149], v[164:165]
	buffer_load_dword v148, off, s[28:31], 0 ; 4-byte Folded Reload
	buffer_load_dword v149, off, s[28:31], 0 offset:4 ; 4-byte Folded Reload
	v_fma_f64 v[132:133], v[124:125], v[124:125], v[132:133]
	v_fma_f64 v[130:131], v[248:249], v[130:131], v[150:151]
	;; [unrolled: 1-line block ×3, first 2 shown]
	s_waitcnt vmcnt(2)
	v_fma_f64 v[132:133], v[248:249], v[132:133], v[134:135]
	v_mul_f64 v[134:135], v[128:129], v[122:123]
	v_fma_f64 v[134:135], v[124:125], v[118:119], v[134:135]
	v_fma_f64 v[134:135], v[126:127], v[120:121], v[134:135]
	s_waitcnt vmcnt(0)
	v_fma_f64 v[134:135], v[248:249], v[134:135], v[148:149]
	v_mul_f64 v[148:149], v[128:129], v[116:117]
	v_fma_f64 v[148:149], v[124:125], v[110:111], v[148:149]
	v_fma_f64 v[148:149], v[126:127], v[112:113], v[148:149]
	v_fma_f64 v[192:193], v[248:249], v[148:149], v[192:193]
	v_mul_f64 v[148:149], v[128:129], v[104:105]
	v_fma_f64 v[148:149], v[124:125], v[100:101], v[148:149]
	v_fma_f64 v[148:149], v[126:127], v[102:103], v[148:149]
	;; [unrolled: 4-line block ×5, first 2 shown]
	v_fma_f64 v[158:159], v[248:249], v[148:149], v[158:159]
	v_mul_f64 v[148:149], v[128:129], v[58:59]
	v_mul_f64 v[128:129], v[128:129], v[48:49]
	v_fma_f64 v[148:149], v[124:125], v[52:53], v[148:149]
	v_fma_f64 v[124:125], v[124:125], v[42:43], v[128:129]
	v_mul_f64 v[128:129], v[122:123], v[116:117]
	v_fma_f64 v[148:149], v[126:127], v[54:55], v[148:149]
	v_fma_f64 v[124:125], v[126:127], v[44:45], v[124:125]
	;; [unrolled: 1-line block ×3, first 2 shown]
	v_mul_f64 v[126:127], v[122:123], v[122:123]
	v_fma_f64 v[150:151], v[248:249], v[148:149], v[160:161]
	v_fma_f64 v[124:125], v[248:249], v[124:125], v[152:153]
	buffer_load_dword v152, off, s[28:31], 0 offset:256 ; 4-byte Folded Reload
	buffer_load_dword v153, off, s[28:31], 0 offset:260 ; 4-byte Folded Reload
	v_mul_f64 v[148:149], v[122:123], v[104:105]
	v_fma_f64 v[128:129], v[120:121], v[112:113], v[128:129]
	v_fma_f64 v[126:127], v[118:119], v[118:119], v[126:127]
	;; [unrolled: 1-line block ×7, first 2 shown]
	s_waitcnt vmcnt(0)
	v_fma_f64 v[168:169], v[248:249], v[148:149], v[152:153]
	buffer_load_dword v152, off, s[28:31], 0 offset:248 ; 4-byte Folded Reload
	buffer_load_dword v153, off, s[28:31], 0 offset:252 ; 4-byte Folded Reload
	v_mul_f64 v[148:149], v[122:123], v[96:97]
	v_fma_f64 v[148:149], v[118:119], v[84:85], v[148:149]
	v_fma_f64 v[148:149], v[120:121], v[92:93], v[148:149]
	s_waitcnt vmcnt(0)
	v_fma_f64 v[160:161], v[248:249], v[148:149], v[152:153]
	buffer_load_dword v152, off, s[28:31], 0 offset:240 ; 4-byte Folded Reload
	buffer_load_dword v153, off, s[28:31], 0 offset:244 ; 4-byte Folded Reload
	;; [unrolled: 1-line block ×4, first 2 shown]
	v_mul_f64 v[148:149], v[122:123], v[78:79]
	buffer_load_dword v156, off, s[28:31], 0 offset:224 ; 4-byte Folded Reload
	buffer_load_dword v157, off, s[28:31], 0 offset:228 ; 4-byte Folded Reload
	v_fma_f64 v[148:149], v[118:119], v[72:73], v[148:149]
	v_fma_f64 v[148:149], v[120:121], v[80:81], v[148:149]
	s_waitcnt vmcnt(4)
	v_fma_f64 v[152:153], v[248:249], v[148:149], v[152:153]
	v_mul_f64 v[148:149], v[122:123], v[70:71]
	v_fma_f64 v[148:149], v[118:119], v[66:67], v[148:149]
	v_fma_f64 v[148:149], v[120:121], v[68:69], v[148:149]
	s_waitcnt vmcnt(2)
	v_fma_f64 v[148:149], v[248:249], v[148:149], v[154:155]
	v_mul_f64 v[154:155], v[122:123], v[58:59]
	v_mul_f64 v[122:123], v[122:123], v[48:49]
	v_fma_f64 v[154:155], v[118:119], v[52:53], v[154:155]
	v_fma_f64 v[118:119], v[118:119], v[42:43], v[122:123]
	;; [unrolled: 1-line block ×4, first 2 shown]
	buffer_load_dword v120, off, s[28:31], 0 offset:216 ; 4-byte Folded Reload
	buffer_load_dword v121, off, s[28:31], 0 offset:220 ; 4-byte Folded Reload
	;; [unrolled: 1-line block ×4, first 2 shown]
	s_waitcnt vmcnt(4)
	v_fma_f64 v[154:155], v[248:249], v[154:155], v[156:157]
	buffer_load_dword v156, off, s[28:31], 0 offset:208 ; 4-byte Folded Reload
	buffer_load_dword v157, off, s[28:31], 0 offset:212 ; 4-byte Folded Reload
	buffer_load_dword v162, off, s[28:31], 0 offset:192 ; 4-byte Folded Reload
	buffer_load_dword v163, off, s[28:31], 0 offset:196 ; 4-byte Folded Reload
	buffer_load_dword v170, off, s[28:31], 0 offset:200 ; 4-byte Folded Reload
	buffer_load_dword v171, off, s[28:31], 0 offset:204 ; 4-byte Folded Reload
	buffer_load_dword v176, off, s[28:31], 0 offset:184 ; 4-byte Folded Reload
	buffer_load_dword v177, off, s[28:31], 0 offset:188 ; 4-byte Folded Reload
	buffer_load_dword v184, off, s[28:31], 0 offset:304 ; 4-byte Folded Reload
	buffer_load_dword v185, off, s[28:31], 0 offset:308 ; 4-byte Folded Reload
	s_waitcnt vmcnt(12)
	v_fma_f64 v[118:119], v[248:249], v[118:119], v[120:121]
	v_mul_f64 v[120:121], v[116:117], v[116:117]
	v_fma_f64 v[120:121], v[110:111], v[110:111], v[120:121]
	v_fma_f64 v[120:121], v[112:113], v[112:113], v[120:121]
	s_waitcnt vmcnt(10)
	v_fma_f64 v[120:121], v[248:249], v[120:121], v[122:123]
	v_mul_f64 v[122:123], v[116:117], v[104:105]
	v_fma_f64 v[122:123], v[110:111], v[100:101], v[122:123]
	v_fma_f64 v[122:123], v[112:113], v[102:103], v[122:123]
	;; [unrolled: 5-line block ×5, first 2 shown]
	s_waitcnt vmcnt(2)
	v_fma_f64 v[170:171], v[248:249], v[170:171], v[176:177]
	v_mul_f64 v[176:177], v[116:117], v[58:59]
	v_mul_f64 v[116:117], v[116:117], v[48:49]
	v_fma_f64 v[176:177], v[110:111], v[52:53], v[176:177]
	v_fma_f64 v[110:111], v[110:111], v[42:43], v[116:117]
	;; [unrolled: 1-line block ×4, first 2 shown]
	buffer_load_dword v112, off, s[28:31], 0 offset:296 ; 4-byte Folded Reload
	buffer_load_dword v113, off, s[28:31], 0 offset:300 ; 4-byte Folded Reload
	;; [unrolled: 1-line block ×4, first 2 shown]
	s_waitcnt vmcnt(4)
	v_fma_f64 v[176:177], v[248:249], v[176:177], v[184:185]
	buffer_load_dword v184, off, s[28:31], 0 offset:168 ; 4-byte Folded Reload
	buffer_load_dword v185, off, s[28:31], 0 offset:172 ; 4-byte Folded Reload
	;; [unrolled: 1-line block ×8, first 2 shown]
	s_waitcnt vmcnt(10)
	v_fma_f64 v[110:111], v[248:249], v[110:111], v[112:113]
	v_mul_f64 v[112:113], v[104:105], v[104:105]
	v_fma_f64 v[112:113], v[100:101], v[100:101], v[112:113]
	v_fma_f64 v[112:113], v[102:103], v[102:103], v[112:113]
	s_waitcnt vmcnt(8)
	v_fma_f64 v[112:113], v[248:249], v[112:113], v[116:117]
	v_mul_f64 v[116:117], v[104:105], v[96:97]
	v_fma_f64 v[116:117], v[100:101], v[84:85], v[116:117]
	v_fma_f64 v[116:117], v[102:103], v[92:93], v[116:117]
	;; [unrolled: 5-line block ×4, first 2 shown]
	s_waitcnt vmcnt(2)
	v_fma_f64 v[188:189], v[248:249], v[188:189], v[200:201]
	v_mul_f64 v[200:201], v[104:105], v[58:59]
	v_mul_f64 v[104:105], v[104:105], v[48:49]
	v_fma_f64 v[200:201], v[100:101], v[52:53], v[200:201]
	v_fma_f64 v[100:101], v[100:101], v[42:43], v[104:105]
	;; [unrolled: 1-line block ×4, first 2 shown]
	buffer_load_dword v102, off, s[28:31], 0 offset:144 ; 4-byte Folded Reload
	buffer_load_dword v103, off, s[28:31], 0 offset:148 ; 4-byte Folded Reload
	;; [unrolled: 1-line block ×4, first 2 shown]
	s_waitcnt vmcnt(4)
	v_fma_f64 v[200:201], v[248:249], v[200:201], v[208:209]
	buffer_load_dword v208, off, s[28:31], 0 offset:128 ; 4-byte Folded Reload
	buffer_load_dword v209, off, s[28:31], 0 offset:132 ; 4-byte Folded Reload
	;; [unrolled: 1-line block ×6, first 2 shown]
	s_waitcnt vmcnt(8)
	v_fma_f64 v[100:101], v[248:249], v[100:101], v[102:103]
	v_mul_f64 v[102:103], v[96:97], v[96:97]
	v_fma_f64 v[102:103], v[84:85], v[84:85], v[102:103]
	v_fma_f64 v[102:103], v[92:93], v[92:93], v[102:103]
	s_waitcnt vmcnt(6)
	v_fma_f64 v[102:103], v[248:249], v[102:103], v[104:105]
	v_mul_f64 v[104:105], v[96:97], v[78:79]
	v_fma_f64 v[104:105], v[84:85], v[72:73], v[104:105]
	v_fma_f64 v[104:105], v[92:93], v[80:81], v[104:105]
	;; [unrolled: 5-line block ×3, first 2 shown]
	s_waitcnt vmcnt(2)
	v_fma_f64 v[208:209], v[248:249], v[208:209], v[220:221]
	v_mul_f64 v[220:221], v[96:97], v[58:59]
	v_mul_f64 v[96:97], v[96:97], v[48:49]
	v_fma_f64 v[220:221], v[84:85], v[52:53], v[220:221]
	v_fma_f64 v[84:85], v[84:85], v[42:43], v[96:97]
	;; [unrolled: 1-line block ×4, first 2 shown]
	buffer_load_dword v92, off, s[28:31], 0 offset:272 ; 4-byte Folded Reload
	buffer_load_dword v93, off, s[28:31], 0 offset:276 ; 4-byte Folded Reload
	;; [unrolled: 1-line block ×4, first 2 shown]
	s_waitcnt vmcnt(4)
	v_fma_f64 v[220:221], v[248:249], v[220:221], v[226:227]
	buffer_load_dword v226, off, s[28:31], 0 offset:104 ; 4-byte Folded Reload
	buffer_load_dword v227, off, s[28:31], 0 offset:108 ; 4-byte Folded Reload
	;; [unrolled: 1-line block ×4, first 2 shown]
	s_waitcnt vmcnt(6)
	v_fma_f64 v[84:85], v[248:249], v[84:85], v[92:93]
	v_mul_f64 v[92:93], v[78:79], v[78:79]
	v_fma_f64 v[92:93], v[72:73], v[72:73], v[92:93]
	v_fma_f64 v[92:93], v[80:81], v[80:81], v[92:93]
	s_waitcnt vmcnt(4)
	v_fma_f64 v[92:93], v[248:249], v[92:93], v[96:97]
	v_mul_f64 v[96:97], v[78:79], v[70:71]
	v_fma_f64 v[96:97], v[72:73], v[66:67], v[96:97]
	v_fma_f64 v[96:97], v[80:81], v[68:69], v[96:97]
	s_waitcnt vmcnt(2)
	v_fma_f64 v[96:97], v[248:249], v[96:97], v[226:227]
	v_mul_f64 v[226:227], v[78:79], v[58:59]
	v_mul_f64 v[78:79], v[78:79], v[48:49]
	v_fma_f64 v[226:227], v[72:73], v[52:53], v[226:227]
	v_fma_f64 v[72:73], v[72:73], v[42:43], v[78:79]
	buffer_load_dword v78, off, s[28:31], 0 offset:80 ; 4-byte Folded Reload
	buffer_load_dword v79, off, s[28:31], 0 offset:84 ; 4-byte Folded Reload
	v_fma_f64 v[226:227], v[80:81], v[54:55], v[226:227]
	v_fma_f64 v[72:73], v[80:81], v[44:45], v[72:73]
	buffer_load_dword v80, off, s[28:31], 0 offset:264 ; 4-byte Folded Reload
	buffer_load_dword v81, off, s[28:31], 0 offset:268 ; 4-byte Folded Reload
	s_waitcnt vmcnt(4)
	v_fma_f64 v[226:227], v[248:249], v[226:227], v[232:233]
	buffer_load_dword v232, off, s[28:31], 0 offset:88 ; 4-byte Folded Reload
	buffer_load_dword v233, off, s[28:31], 0 offset:92 ; 4-byte Folded Reload
	s_waitcnt vmcnt(4)
	v_fma_f64 v[72:73], v[248:249], v[72:73], v[78:79]
	v_mul_f64 v[78:79], v[70:71], v[70:71]
	v_fma_f64 v[78:79], v[66:67], v[66:67], v[78:79]
	v_fma_f64 v[78:79], v[68:69], v[68:69], v[78:79]
	s_waitcnt vmcnt(2)
	v_fma_f64 v[78:79], v[248:249], v[78:79], v[80:81]
	v_mul_f64 v[80:81], v[70:71], v[58:59]
	v_mul_f64 v[70:71], v[70:71], v[48:49]
	v_fma_f64 v[80:81], v[66:67], v[52:53], v[80:81]
	v_fma_f64 v[66:67], v[66:67], v[42:43], v[70:71]
	buffer_load_dword v70, off, s[28:31], 0 offset:528 ; 4-byte Folded Reload
	buffer_load_dword v71, off, s[28:31], 0 offset:532 ; 4-byte Folded Reload
	v_fma_f64 v[80:81], v[68:69], v[54:55], v[80:81]
	v_fma_f64 v[66:67], v[68:69], v[44:45], v[66:67]
	buffer_load_dword v68, off, s[28:31], 0 offset:64 ; 4-byte Folded Reload
	buffer_load_dword v69, off, s[28:31], 0 offset:68 ; 4-byte Folded Reload
	s_waitcnt vmcnt(4)
	v_fma_f64 v[80:81], v[248:249], v[80:81], v[232:233]
	buffer_load_dword v232, off, s[28:31], 0 offset:56 ; 4-byte Folded Reload
	buffer_load_dword v233, off, s[28:31], 0 offset:60 ; 4-byte Folded Reload
	s_waitcnt vmcnt(2)
	v_fma_f64 v[66:67], v[248:249], v[66:67], v[68:69]
	v_mul_f64 v[68:69], v[58:59], v[58:59]
	v_mul_f64 v[58:59], v[58:59], v[48:49]
	;; [unrolled: 1-line block ×3, first 2 shown]
	v_fma_f64 v[68:69], v[52:53], v[52:53], v[68:69]
	v_fma_f64 v[52:53], v[52:53], v[42:43], v[58:59]
	;; [unrolled: 1-line block ×3, first 2 shown]
	buffer_load_dword v58, off, s[28:31], 0 offset:504 ; 4-byte Folded Reload
	buffer_load_dword v59, off, s[28:31], 0 offset:508 ; 4-byte Folded Reload
	v_fma_f64 v[68:69], v[54:55], v[54:55], v[68:69]
	v_fma_f64 v[52:53], v[54:55], v[44:45], v[52:53]
	buffer_load_dword v54, off, s[28:31], 0 offset:48 ; 4-byte Folded Reload
	buffer_load_dword v55, off, s[28:31], 0 offset:52 ; 4-byte Folded Reload
	;; [unrolled: 1-line block ×4, first 2 shown]
	v_fma_f64 v[42:43], v[44:45], v[44:45], v[42:43]
	buffer_load_dword v44, off, s[28:31], 0 offset:72 ; 4-byte Folded Reload
	buffer_load_dword v45, off, s[28:31], 0 offset:76 ; 4-byte Folded Reload
	s_waitcnt vmcnt(8)
	v_fma_f64 v[68:69], v[248:249], v[68:69], v[232:233]
	s_waitcnt vmcnt(4)
	v_fma_f64 v[52:53], v[248:249], v[52:53], v[54:55]
	;; [unrolled: 2-line block ×3, first 2 shown]
	v_mul_f64 v[44:45], v[114:115], v[114:115]
	v_fma_f64 v[44:45], v[106:107], v[106:107], v[44:45]
	v_fma_f64 v[44:45], v[108:109], v[108:109], v[44:45]
	v_fma_f64 v[244:245], v[248:249], v[44:45], v[244:245]
	v_mul_f64 v[44:45], v[114:115], v[98:99]
	v_fma_f64 v[44:45], v[106:107], v[82:83], v[44:45]
	v_fma_f64 v[44:45], v[108:109], v[94:95], v[44:45]
	v_fma_f64 v[242:243], v[248:249], v[44:45], v[242:243]
	;; [unrolled: 4-line block ×13, first 2 shown]
	buffer_store_dword v44, off, s[28:31], 0 offset:32 ; 4-byte Folded Spill
	s_nop 0
	buffer_store_dword v45, off, s[28:31], 0 offset:36 ; 4-byte Folded Spill
	v_mul_f64 v[44:45], v[98:99], v[62:63]
	v_fma_f64 v[44:45], v[82:83], v[38:39], v[44:45]
	v_fma_f64 v[44:45], v[94:95], v[46:47], v[44:45]
	v_fma_f64 v[44:45], v[248:249], v[44:45], v[146:147]
	buffer_store_dword v44, off, s[28:31], 0 offset:24 ; 4-byte Folded Spill
	s_nop 0
	buffer_store_dword v45, off, s[28:31], 0 offset:28 ; 4-byte Folded Spill
	v_mul_f64 v[44:45], v[98:99], v[34:35]
	v_fma_f64 v[44:45], v[82:83], v[28:29], v[44:45]
	v_fma_f64 v[44:45], v[94:95], v[30:31], v[44:45]
	v_fma_f64 v[228:229], v[248:249], v[44:45], v[228:229]
	v_mul_f64 v[44:45], v[98:99], v[24:25]
	v_fma_f64 v[44:45], v[82:83], v[20:21], v[44:45]
	v_fma_f64 v[44:45], v[94:95], v[22:23], v[44:45]
	v_fma_f64 v[222:223], v[248:249], v[44:45], v[222:223]
	;; [unrolled: 4-line block ×10, first 2 shown]
	buffer_store_dword v44, off, s[28:31], 0 offset:40 ; 4-byte Folded Spill
	s_nop 0
	buffer_store_dword v45, off, s[28:31], 0 offset:44 ; 4-byte Folded Spill
	v_mul_f64 v[44:45], v[62:63], v[34:35]
	v_fma_f64 v[44:45], v[38:39], v[28:29], v[44:45]
	v_fma_f64 v[44:45], v[46:47], v[30:31], v[44:45]
	;; [unrolled: 1-line block ×3, first 2 shown]
	buffer_store_dword v44, off, s[28:31], 0 offset:16 ; 4-byte Folded Spill
	s_nop 0
	buffer_store_dword v45, off, s[28:31], 0 offset:20 ; 4-byte Folded Spill
	v_mul_f64 v[44:45], v[62:63], v[24:25]
	v_fma_f64 v[44:45], v[38:39], v[20:21], v[44:45]
	v_fma_f64 v[44:45], v[46:47], v[22:23], v[44:45]
	v_fma_f64 v[214:215], v[248:249], v[44:45], v[214:215]
	v_mul_f64 v[44:45], v[62:63], v[18:19]
	v_fma_f64 v[44:45], v[38:39], v[10:11], v[44:45]
	v_fma_f64 v[44:45], v[46:47], v[14:15], v[44:45]
	v_fma_f64 v[206:207], v[248:249], v[44:45], v[206:207]
	;; [unrolled: 4-line block ×7, first 2 shown]
	v_mul_f64 v[44:45], v[62:63], v[56:57]
	buffer_load_dword v62, off, s[28:31], 0 offset:352 ; 4-byte Folded Reload
	buffer_load_dword v63, off, s[28:31], 0 offset:356 ; 4-byte Folded Reload
	v_fma_f64 v[38:39], v[38:39], v[12:13], v[44:45]
	buffer_load_dword v44, off, s[28:31], 0 offset:440 ; 4-byte Folded Reload
	buffer_load_dword v45, off, s[28:31], 0 offset:444 ; 4-byte Folded Reload
	v_fma_f64 v[38:39], v[46:47], v[250:251], v[38:39]
	;; [unrolled: 3-line block ×3, first 2 shown]
	v_mul_f64 v[38:39], v[34:35], v[34:35]
	v_fma_f64 v[38:39], v[28:29], v[28:29], v[38:39]
	v_fma_f64 v[38:39], v[30:31], v[30:31], v[38:39]
	;; [unrolled: 1-line block ×3, first 2 shown]
	buffer_store_dword v38, off, s[28:31], 0 offset:8 ; 4-byte Folded Spill
	s_nop 0
	buffer_store_dword v39, off, s[28:31], 0 offset:12 ; 4-byte Folded Spill
	v_mul_f64 v[38:39], v[34:35], v[24:25]
	v_fma_f64 v[38:39], v[28:29], v[20:21], v[38:39]
	v_fma_f64 v[38:39], v[30:31], v[22:23], v[38:39]
	;; [unrolled: 1-line block ×3, first 2 shown]
	buffer_store_dword v38, off, s[28:31], 0 ; 4-byte Folded Spill
	s_nop 0
	buffer_store_dword v39, off, s[28:31], 0 offset:4 ; 4-byte Folded Spill
	v_mul_f64 v[38:39], v[34:35], v[18:19]
	v_fma_f64 v[38:39], v[28:29], v[10:11], v[38:39]
	v_fma_f64 v[38:39], v[30:31], v[14:15], v[38:39]
	v_fma_f64 v[192:193], v[248:249], v[38:39], v[192:193]
	v_mul_f64 v[38:39], v[34:35], v[6:7]
	v_fma_f64 v[38:39], v[28:29], v[64:65], v[38:39]
	v_fma_f64 v[38:39], v[30:31], v[4:5], v[38:39]
	v_fma_f64 v[182:183], v[248:249], v[38:39], v[182:183]
	;; [unrolled: 4-line block ×5, first 2 shown]
	v_mul_f64 v[38:39], v[34:35], v[2:3]
	v_mul_f64 v[34:35], v[34:35], v[56:57]
	v_fma_f64 v[38:39], v[28:29], v[252:253], v[38:39]
	v_fma_f64 v[28:29], v[28:29], v[12:13], v[34:35]
	;; [unrolled: 1-line block ×6, first 2 shown]
	v_mul_f64 v[28:29], v[24:25], v[24:25]
	buffer_load_dword v38, off, s[28:31], 0 offset:416 ; 4-byte Folded Reload
	buffer_load_dword v39, off, s[28:31], 0 offset:420 ; 4-byte Folded Reload
	;; [unrolled: 1-line block ×6, first 2 shown]
	v_fma_f64 v[28:29], v[20:21], v[20:21], v[28:29]
	v_fma_f64 v[28:29], v[22:23], v[22:23], v[28:29]
	v_fma_f64 v[236:237], v[248:249], v[28:29], v[126:127]
	v_mul_f64 v[28:29], v[24:25], v[18:19]
	v_fma_f64 v[28:29], v[20:21], v[10:11], v[28:29]
	v_fma_f64 v[28:29], v[22:23], v[14:15], v[28:29]
	v_fma_f64 v[150:151], v[248:249], v[28:29], v[128:129]
	v_mul_f64 v[28:29], v[24:25], v[6:7]
	;; [unrolled: 4-line block ×6, first 2 shown]
	v_mul_f64 v[24:25], v[24:25], v[56:57]
	v_fma_f64 v[28:29], v[20:21], v[252:253], v[28:29]
	v_fma_f64 v[20:21], v[20:21], v[12:13], v[24:25]
	;; [unrolled: 1-line block ×6, first 2 shown]
	v_mul_f64 v[20:21], v[18:19], v[18:19]
	v_fma_f64 v[20:21], v[10:11], v[10:11], v[20:21]
	v_fma_f64 v[20:21], v[14:15], v[14:15], v[20:21]
	v_fma_f64 v[148:149], v[248:249], v[20:21], v[120:121]
	v_mul_f64 v[20:21], v[18:19], v[6:7]
	v_fma_f64 v[20:21], v[10:11], v[64:65], v[20:21]
	v_fma_f64 v[20:21], v[14:15], v[4:5], v[20:21]
	v_fma_f64 v[144:145], v[248:249], v[20:21], v[122:123]
	;; [unrolled: 4-line block ×5, first 2 shown]
	v_mul_f64 v[20:21], v[18:19], v[2:3]
	v_mul_f64 v[18:19], v[18:19], v[56:57]
	v_fma_f64 v[20:21], v[10:11], v[252:253], v[20:21]
	v_fma_f64 v[10:11], v[10:11], v[12:13], v[18:19]
	;; [unrolled: 1-line block ×6, first 2 shown]
	v_mul_f64 v[10:11], v[6:7], v[6:7]
	v_fma_f64 v[10:11], v[64:65], v[64:65], v[10:11]
	v_fma_f64 v[10:11], v[4:5], v[4:5], v[10:11]
	v_fma_f64 v[134:135], v[248:249], v[10:11], v[112:113]
	v_mul_f64 v[10:11], v[6:7], v[60:61]
	v_fma_f64 v[10:11], v[64:65], v[40:41], v[10:11]
	v_fma_f64 v[10:11], v[4:5], v[50:51], v[10:11]
	v_fma_f64 v[126:127], v[248:249], v[10:11], v[116:117]
	;; [unrolled: 4-line block ×4, first 2 shown]
	v_mul_f64 v[10:11], v[6:7], v[2:3]
	v_mul_f64 v[6:7], v[6:7], v[56:57]
	v_fma_f64 v[10:11], v[64:65], v[252:253], v[10:11]
	v_fma_f64 v[6:7], v[64:65], v[12:13], v[6:7]
	;; [unrolled: 1-line block ×6, first 2 shown]
	v_mul_f64 v[4:5], v[60:61], v[60:61]
	buffer_load_dword v10, off, s[28:31], 0 offset:392 ; 4-byte Folded Reload
	buffer_load_dword v11, off, s[28:31], 0 offset:396 ; 4-byte Folded Reload
	;; [unrolled: 1-line block ×4, first 2 shown]
	v_fma_f64 v[4:5], v[40:41], v[40:41], v[4:5]
	v_fma_f64 v[4:5], v[50:51], v[50:51], v[4:5]
	v_fma_f64 v[116:117], v[248:249], v[4:5], v[102:103]
	v_mul_f64 v[4:5], v[60:61], v[36:37]
	v_fma_f64 v[4:5], v[40:41], v[26:27], v[4:5]
	v_fma_f64 v[4:5], v[50:51], v[32:33], v[4:5]
	v_fma_f64 v[110:111], v[248:249], v[4:5], v[104:105]
	v_mul_f64 v[4:5], v[60:61], v[16:17]
	;; [unrolled: 4-line block ×4, first 2 shown]
	buffer_load_dword v60, off, s[28:31], 0 offset:344 ; 4-byte Folded Reload
	buffer_load_dword v61, off, s[28:31], 0 offset:348 ; 4-byte Folded Reload
	v_fma_f64 v[4:5], v[40:41], v[12:13], v[4:5]
	buffer_load_dword v40, off, s[28:31], 0 offset:464 ; 4-byte Folded Reload
	buffer_load_dword v41, off, s[28:31], 0 offset:468 ; 4-byte Folded Reload
	v_fma_f64 v[4:5], v[50:51], v[250:251], v[4:5]
	;; [unrolled: 3-line block ×3, first 2 shown]
	v_mul_f64 v[4:5], v[36:37], v[36:37]
	v_fma_f64 v[4:5], v[26:27], v[26:27], v[4:5]
	v_fma_f64 v[4:5], v[32:33], v[32:33], v[4:5]
	v_fma_f64 v[102:103], v[248:249], v[4:5], v[92:93]
	v_mul_f64 v[4:5], v[36:37], v[16:17]
	v_fma_f64 v[4:5], v[26:27], v[0:1], v[4:5]
	v_fma_f64 v[4:5], v[32:33], v[8:9], v[4:5]
	v_fma_f64 v[92:93], v[248:249], v[4:5], v[96:97]
	;; [unrolled: 4-line block ×3, first 2 shown]
	v_mul_f64 v[4:5], v[36:37], v[56:57]
	buffer_load_dword v36, off, s[28:31], 0 offset:424 ; 4-byte Folded Reload
	buffer_load_dword v37, off, s[28:31], 0 offset:428 ; 4-byte Folded Reload
	v_fma_f64 v[4:5], v[26:27], v[12:13], v[4:5]
	v_fma_f64 v[4:5], v[32:33], v[250:251], v[4:5]
	buffer_load_dword v32, off, s[28:31], 0 offset:408 ; 4-byte Folded Reload
	buffer_load_dword v33, off, s[28:31], 0 offset:412 ; 4-byte Folded Reload
	v_fma_f64 v[54:55], v[248:249], v[4:5], v[72:73]
	v_mul_f64 v[4:5], v[16:17], v[16:17]
	buffer_load_dword v72, off, s[28:31], 0 offset:512 ; 4-byte Folded Reload
	buffer_load_dword v73, off, s[28:31], 0 offset:516 ; 4-byte Folded Reload
	v_fma_f64 v[4:5], v[0:1], v[0:1], v[4:5]
	v_fma_f64 v[4:5], v[8:9], v[8:9], v[4:5]
	;; [unrolled: 1-line block ×3, first 2 shown]
	v_mul_f64 v[4:5], v[16:17], v[2:3]
	v_fma_f64 v[4:5], v[0:1], v[252:253], v[4:5]
	v_fma_f64 v[4:5], v[8:9], v[254:255], v[4:5]
	;; [unrolled: 1-line block ×3, first 2 shown]
	v_mul_f64 v[4:5], v[16:17], v[56:57]
	v_fma_f64 v[0:1], v[0:1], v[12:13], v[4:5]
	v_fma_f64 v[0:1], v[8:9], v[250:251], v[0:1]
	buffer_load_dword v8, off, s[28:31], 0 offset:384 ; 4-byte Folded Reload
	buffer_load_dword v9, off, s[28:31], 0 offset:388 ; 4-byte Folded Reload
	v_fma_f64 v[26:27], v[248:249], v[0:1], v[66:67]
	v_mul_f64 v[0:1], v[2:3], v[2:3]
	buffer_load_dword v66, off, s[28:31], 0 offset:368 ; 4-byte Folded Reload
	buffer_load_dword v67, off, s[28:31], 0 offset:372 ; 4-byte Folded Reload
	v_fma_f64 v[0:1], v[252:253], v[252:253], v[0:1]
	v_fma_f64 v[0:1], v[254:255], v[254:255], v[0:1]
	v_fma_f64 v[28:29], v[248:249], v[0:1], v[68:69]
	v_mul_f64 v[0:1], v[2:3], v[56:57]
	buffer_load_dword v68, off, s[28:31], 0 offset:376 ; 4-byte Folded Reload
	buffer_load_dword v69, off, s[28:31], 0 offset:380 ; 4-byte Folded Reload
	v_fma_f64 v[0:1], v[252:253], v[12:13], v[0:1]
	v_fma_f64 v[0:1], v[254:255], v[250:251], v[0:1]
	;; [unrolled: 1-line block ×3, first 2 shown]
	v_mul_f64 v[0:1], v[56:57], v[56:57]
	buffer_load_dword v52, off, s[28:31], 0 offset:480 ; 4-byte Folded Reload
	buffer_load_dword v53, off, s[28:31], 0 offset:484 ; 4-byte Folded Reload
	;; [unrolled: 1-line block ×4, first 2 shown]
	v_fma_f64 v[0:1], v[12:13], v[12:13], v[0:1]
	buffer_load_dword v12, off, s[28:31], 0 offset:400 ; 4-byte Folded Reload
	buffer_load_dword v13, off, s[28:31], 0 offset:404 ; 4-byte Folded Reload
	v_fma_f64 v[0:1], v[250:251], v[250:251], v[0:1]
	v_fma_f64 v[96:97], v[248:249], v[0:1], v[42:43]
	buffer_load_dword v42, off, s[28:31], 0 offset:432 ; 4-byte Folded Reload
	buffer_load_dword v43, off, s[28:31], 0 offset:436 ; 4-byte Folded Reload
	s_cbranch_vccz .LBB0_4
; %bb.5:                                ;   in Loop: Header=BB0_3 Depth=2
	buffer_load_dword v86, off, s[28:31], 0 offset:32 ; 4-byte Folded Reload
	buffer_load_dword v87, off, s[28:31], 0 offset:36 ; 4-byte Folded Reload
	;; [unrolled: 1-line block ×10, first 2 shown]
	buffer_load_dword v80, off, s[28:31], 0 ; 4-byte Folded Reload
	buffer_load_dword v81, off, s[28:31], 0 offset:4 ; 4-byte Folded Reload
	s_mov_b64 s[0:1], 0
	s_and_b64 vcc, exec, s[16:17]
	s_cbranch_vccnz .LBB0_7
; %bb.6:                                ;   in Loop: Header=BB0_3 Depth=2
	s_mov_b64 s[14:15], s[6:7]
	s_branch .LBB0_3
.LBB0_7:                                ;   in Loop: Header=BB0_2 Depth=1
	s_and_b64 vcc, exec, s[12:13]
	s_cbranch_vccnz .LBB0_9
; %bb.8:                                ;   in Loop: Header=BB0_2 Depth=1
	s_mov_b64 s[10:11], s[6:7]
	s_branch .LBB0_2
.LBB0_9:
	v_add_f64 v[0:1], v[244:245], 0
	v_add_f64 v[2:3], v[242:243], 0
	;; [unrolled: 1-line block ×4, first 2 shown]
	s_waitcnt vmcnt(24)
	v_add_f64 v[8:9], v[234:235], 0
	v_add_f64 v[10:11], v[230:231], 0
	s_waitcnt vmcnt(14)
	v_add_f64 v[12:13], v[224:225], 0
	v_add_f64 v[14:15], v[218:219], 0
	v_add_f64 v[0:1], v[0:1], v[242:243]
	s_waitcnt vmcnt(10)
	v_add_f64 v[2:3], v[2:3], v[86:87]
	s_waitcnt vmcnt(8)
	v_add_f64 v[4:5], v[4:5], v[156:157]
	v_add_f64 v[6:7], v[6:7], v[228:229]
	v_add_f64 v[8:9], v[8:9], v[222:223]
	v_add_f64 v[10:11], v[10:11], v[216:217]
	v_add_f64 v[12:13], v[12:13], v[210:211]
	v_add_f64 v[16:17], v[212:213], 0
	v_add_f64 v[0:1], v[0:1], v[240:241]
	v_add_f64 v[2:3], v[2:3], v[156:157]
	s_waitcnt vmcnt(6)
	v_add_f64 v[4:5], v[4:5], v[88:89]
	s_waitcnt vmcnt(4)
	v_add_f64 v[6:7], v[6:7], v[152:153]
	v_add_f64 v[8:9], v[8:9], v[214:215]
	v_add_f64 v[10:11], v[10:11], v[206:207]
	v_add_f64 v[14:15], v[14:15], v[202:203]
	v_add_f64 v[12:13], v[12:13], v[198:199]
	;; [unrolled: 11-line block ×3, first 2 shown]
	v_add_f64 v[2:3], v[2:3], v[222:223]
	v_add_f64 v[4:5], v[4:5], v[214:215]
	v_add_f64 v[6:7], v[6:7], v[80:81]
	v_add_f64 v[8:9], v[8:9], v[236:237]
	v_add_f64 v[14:15], v[14:15], v[190:191]
	v_add_f64 v[12:13], v[12:13], v[182:183]
	v_add_f64 v[10:11], v[10:11], v[150:151]
	v_add_f64 v[0:1], v[0:1], v[230:231]
	v_add_f64 v[2:3], v[2:3], v[216:217]
	v_add_f64 v[4:5], v[4:5], v[206:207]
	v_add_f64 v[6:7], v[6:7], v[192:193]
	v_add_f64 v[8:9], v[8:9], v[150:151]
	v_add_f64 v[20:21], v[196:197], 0
	v_add_f64 v[18:19], v[18:19], v[186:187]
	v_add_f64 v[16:17], v[16:17], v[180:181]
	v_add_f64 v[0:1], v[0:1], v[224:225]
	v_add_f64 v[2:3], v[2:3], v[210:211]
	v_add_f64 v[4:5], v[4:5], v[198:199]
	v_add_f64 v[6:7], v[6:7], v[182:183]
	v_add_f64 v[14:15], v[14:15], v[174:175]
	v_add_f64 v[12:13], v[12:13], v[168:169]
	v_add_f64 v[10:11], v[10:11], v[148:149]
	v_add_f64 v[8:9], v[8:9], v[168:169]
	v_add_f64 v[0:1], v[0:1], v[218:219]
	v_add_f64 v[2:3], v[2:3], v[202:203]
	v_add_f64 v[4:5], v[4:5], v[190:191]
	v_add_f64 v[6:7], v[6:7], v[174:175]
	v_add_f64 v[20:21], v[20:21], v[178:179]
	v_add_f64 v[18:19], v[18:19], v[172:173]
	v_add_f64 v[16:17], v[16:17], v[166:167]
	v_add_f64 v[14:15], v[14:15], v[146:147]
	v_add_f64 v[0:1], v[0:1], v[212:213]
	v_add_f64 v[2:3], v[2:3], v[194:195]
	v_add_f64 v[4:5], v[4:5], v[180:181]
	v_add_f64 v[12:13], v[12:13], v[144:145]
	v_add_f64 v[10:11], v[10:11], v[144:145]
	v_add_f64 v[8:9], v[8:9], v[146:147]
	v_add_f64 v[6:7], v[6:7], v[166:167]
	v_add_f64 v[20:21], v[20:21], v[164:165]
	v_add_f64 v[0:1], v[0:1], v[204:205]
	v_add_f64 v[2:3], v[2:3], v[186:187]
	v_add_f64 v[4:5], v[4:5], v[172:173]
	v_add_f64 v[18:19], v[18:19], v[158:159]
	v_add_f64 v[16:17], v[16:17], v[138:139]
	v_add_f64 v[14:15], v[14:15], v[136:137]
	v_add_f64 v[12:13], v[12:13], v[134:135]
	v_add_f64 v[10:11], v[10:11], v[136:137]
	v_add_f64 v[0:1], v[0:1], v[196:197]
	v_add_f64 v[2:3], v[2:3], v[178:179]
	v_add_f64 v[8:9], v[8:9], v[138:139]
	v_add_f64 v[6:7], v[6:7], v[158:159]
	v_add_f64 v[4:5], v[4:5], v[164:165]
	v_add_f64 v[20:21], v[20:21], v[142:143]
	v_add_f64 v[18:19], v[18:19], v[132:133]
	v_add_f64 v[16:17], v[16:17], v[128:129]
	v_add_f64 v[0:1], v[0:1], v[246:247]
	v_add_f64 v[2:3], v[2:3], v[232:233]
	v_add_f64 v[14:15], v[14:15], v[126:127]
	v_add_f64 v[12:13], v[12:13], v[126:127]
	v_add_f64 v[10:11], v[10:11], v[128:129]
	v_add_f64 v[8:9], v[8:9], v[132:133]
	v_add_f64 v[6:7], v[6:7], v[142:143]
	v_add_f64 v[4:5], v[4:5], v[140:141]
	v_add_f64 v[0:1], v[0:1], 0
	v_add_f64 v[20:21], v[20:21], v[124:125]
	v_add_f64 v[16:17], v[16:17], v[120:121]
	v_add_f64 v[14:15], v[14:15], v[116:117]
	v_add_f64 v[12:13], v[12:13], v[120:121]
	v_add_f64 v[10:11], v[10:11], v[122:123]
	v_add_f64 v[8:9], v[8:9], v[124:125]
	v_add_f64 v[6:7], v[6:7], v[130:131]
	v_add_f64 v[0:1], v[0:1], v[2:3]
	v_add_f64 v[2:3], v[18:19], v[122:123]
	v_add_f64 v[16:17], v[16:17], v[110:111]
	v_add_f64 v[14:15], v[14:15], v[110:111]
	v_add_f64 v[12:13], v[12:13], v[112:113]
	v_add_f64 v[10:11], v[10:11], v[114:115]
	v_add_f64 v[8:9], v[8:9], v[118:119]
	v_add_f64 v[22:23], v[246:247], 0
	v_add_f64 v[0:1], v[0:1], v[4:5]
	v_add_f64 v[4:5], v[20:21], v[114:115]
	v_add_f64 v[2:3], v[2:3], v[112:113]
	v_add_f64 v[16:17], v[16:17], v[102:103]
	v_add_f64 v[14:15], v[14:15], v[104:105]
	v_add_f64 v[12:13], v[12:13], v[106:107]
	v_add_f64 v[10:11], v[10:11], v[108:109]
	v_add_f64 v[22:23], v[22:23], v[232:233]
	v_add_f64 v[0:1], v[0:1], v[6:7]
	v_add_f64 v[4:5], v[4:5], v[106:107]
	v_add_f64 v[2:3], v[2:3], v[104:105]
	v_add_f64 v[14:15], v[14:15], v[98:99]
	v_add_f64 v[12:13], v[12:13], v[100:101]
	v_add_f64 v[22:23], v[22:23], v[140:141]
	v_add_f64 v[0:1], v[0:1], v[8:9]
	v_add_f64 v[4:5], v[4:5], v[98:99]
	v_add_f64 v[2:3], v[2:3], v[92:93]
	v_add_f64 v[8:9], v[16:17], v[92:93]
	v_add_f64 v[22:23], v[22:23], v[130:131]
	v_add_f64 v[0:1], v[0:1], v[10:11]
	v_add_f64 v[4:5], v[4:5], v[84:85]
	v_add_f64 v[2:3], v[2:3], v[82:83]
	v_add_f64 v[8:9], v[8:9], v[84:85]
	v_add_f64 v[10:11], v[14:15], v[94:95]
	v_add_f64 v[6:7], v[22:23], v[118:119]
	v_add_f64 v[0:1], v[0:1], v[12:13]
	v_add_f64 v[4:5], v[4:5], v[78:79]
	v_add_f64 v[2:3], v[2:3], v[78:79]
	v_add_f64 v[8:9], v[8:9], v[54:55]
	v_add_f64 v[6:7], v[6:7], v[108:109]
	v_add_f64 v[0:1], v[0:1], v[10:11]
	v_add_f64 v[4:5], v[4:5], v[28:29]
	v_add_f64 v[2:3], v[2:3], v[26:27]
	v_add_f64 v[6:7], v[6:7], v[100:101]
	v_add_f64 v[0:1], v[0:1], v[8:9]
	v_add_f64 v[4:5], v[4:5], v[24:25]
	v_add_f64 v[6:7], v[6:7], v[94:95]
	v_add_f64 v[0:1], v[0:1], v[2:3]
	v_add_f64 v[6:7], v[6:7], v[54:55]
	v_add_f64 v[0:1], v[0:1], v[4:5]
	buffer_load_dword v4, off, s[28:31], 0 offset:632 ; 4-byte Folded Reload
	buffer_load_dword v5, off, s[28:31], 0 offset:636 ; 4-byte Folded Reload
	v_add_f64 v[6:7], v[6:7], v[26:27]
	v_add_f64 v[2:3], v[6:7], v[24:25]
	;; [unrolled: 1-line block ×4, first 2 shown]
	v_mov_b32_e32 v3, s9
	s_waitcnt vmcnt(1)
	v_add_co_u32_e32 v2, vcc, s8, v4
	s_waitcnt vmcnt(0)
	v_addc_co_u32_e32 v3, vcc, v3, v5, vcc
	global_store_dwordx2 v[2:3], v[0:1], off
.LBB0_10:
	s_endpgm
	.section	.rodata,"a",@progbits
	.p2align	6, 0x0
	.amdhsa_kernel _ZN8rajaperf4apps6edge3dILm256EEEvPdS2_S2_S2_S2_S2_S2_S2_S2_S2_S2_S2_S2_S2_S2_S2_S2_S2_S2_S2_S2_S2_S2_S2_S2_ll
		.amdhsa_group_segment_fixed_size 0
		.amdhsa_private_segment_fixed_size 644
		.amdhsa_kernarg_size 216
		.amdhsa_user_sgpr_count 6
		.amdhsa_user_sgpr_private_segment_buffer 1
		.amdhsa_user_sgpr_dispatch_ptr 0
		.amdhsa_user_sgpr_queue_ptr 0
		.amdhsa_user_sgpr_kernarg_segment_ptr 1
		.amdhsa_user_sgpr_dispatch_id 0
		.amdhsa_user_sgpr_flat_scratch_init 0
		.amdhsa_user_sgpr_private_segment_size 0
		.amdhsa_uses_dynamic_stack 0
		.amdhsa_system_sgpr_private_segment_wavefront_offset 1
		.amdhsa_system_sgpr_workgroup_id_x 1
		.amdhsa_system_sgpr_workgroup_id_y 0
		.amdhsa_system_sgpr_workgroup_id_z 0
		.amdhsa_system_sgpr_workgroup_info 0
		.amdhsa_system_vgpr_workitem_id 0
		.amdhsa_next_free_vgpr 256
		.amdhsa_next_free_sgpr 52
		.amdhsa_reserve_vcc 1
		.amdhsa_reserve_flat_scratch 0
		.amdhsa_float_round_mode_32 0
		.amdhsa_float_round_mode_16_64 0
		.amdhsa_float_denorm_mode_32 3
		.amdhsa_float_denorm_mode_16_64 3
		.amdhsa_dx10_clamp 1
		.amdhsa_ieee_mode 1
		.amdhsa_fp16_overflow 0
		.amdhsa_exception_fp_ieee_invalid_op 0
		.amdhsa_exception_fp_denorm_src 0
		.amdhsa_exception_fp_ieee_div_zero 0
		.amdhsa_exception_fp_ieee_overflow 0
		.amdhsa_exception_fp_ieee_underflow 0
		.amdhsa_exception_fp_ieee_inexact 0
		.amdhsa_exception_int_div_zero 0
	.end_amdhsa_kernel
	.section	.text._ZN8rajaperf4apps6edge3dILm256EEEvPdS2_S2_S2_S2_S2_S2_S2_S2_S2_S2_S2_S2_S2_S2_S2_S2_S2_S2_S2_S2_S2_S2_S2_S2_ll,"axG",@progbits,_ZN8rajaperf4apps6edge3dILm256EEEvPdS2_S2_S2_S2_S2_S2_S2_S2_S2_S2_S2_S2_S2_S2_S2_S2_S2_S2_S2_S2_S2_S2_S2_S2_ll,comdat
.Lfunc_end0:
	.size	_ZN8rajaperf4apps6edge3dILm256EEEvPdS2_S2_S2_S2_S2_S2_S2_S2_S2_S2_S2_S2_S2_S2_S2_S2_S2_S2_S2_S2_S2_S2_S2_S2_ll, .Lfunc_end0-_ZN8rajaperf4apps6edge3dILm256EEEvPdS2_S2_S2_S2_S2_S2_S2_S2_S2_S2_S2_S2_S2_S2_S2_S2_S2_S2_S2_S2_S2_S2_S2_S2_ll
                                        ; -- End function
	.set _ZN8rajaperf4apps6edge3dILm256EEEvPdS2_S2_S2_S2_S2_S2_S2_S2_S2_S2_S2_S2_S2_S2_S2_S2_S2_S2_S2_S2_S2_S2_S2_S2_ll.num_vgpr, 256
	.set _ZN8rajaperf4apps6edge3dILm256EEEvPdS2_S2_S2_S2_S2_S2_S2_S2_S2_S2_S2_S2_S2_S2_S2_S2_S2_S2_S2_S2_S2_S2_S2_S2_ll.num_agpr, 0
	.set _ZN8rajaperf4apps6edge3dILm256EEEvPdS2_S2_S2_S2_S2_S2_S2_S2_S2_S2_S2_S2_S2_S2_S2_S2_S2_S2_S2_S2_S2_S2_S2_S2_ll.numbered_sgpr, 52
	.set _ZN8rajaperf4apps6edge3dILm256EEEvPdS2_S2_S2_S2_S2_S2_S2_S2_S2_S2_S2_S2_S2_S2_S2_S2_S2_S2_S2_S2_S2_S2_S2_S2_ll.num_named_barrier, 0
	.set _ZN8rajaperf4apps6edge3dILm256EEEvPdS2_S2_S2_S2_S2_S2_S2_S2_S2_S2_S2_S2_S2_S2_S2_S2_S2_S2_S2_S2_S2_S2_S2_S2_ll.private_seg_size, 644
	.set _ZN8rajaperf4apps6edge3dILm256EEEvPdS2_S2_S2_S2_S2_S2_S2_S2_S2_S2_S2_S2_S2_S2_S2_S2_S2_S2_S2_S2_S2_S2_S2_S2_ll.uses_vcc, 1
	.set _ZN8rajaperf4apps6edge3dILm256EEEvPdS2_S2_S2_S2_S2_S2_S2_S2_S2_S2_S2_S2_S2_S2_S2_S2_S2_S2_S2_S2_S2_S2_S2_S2_ll.uses_flat_scratch, 0
	.set _ZN8rajaperf4apps6edge3dILm256EEEvPdS2_S2_S2_S2_S2_S2_S2_S2_S2_S2_S2_S2_S2_S2_S2_S2_S2_S2_S2_S2_S2_S2_S2_S2_ll.has_dyn_sized_stack, 0
	.set _ZN8rajaperf4apps6edge3dILm256EEEvPdS2_S2_S2_S2_S2_S2_S2_S2_S2_S2_S2_S2_S2_S2_S2_S2_S2_S2_S2_S2_S2_S2_S2_S2_ll.has_recursion, 0
	.set _ZN8rajaperf4apps6edge3dILm256EEEvPdS2_S2_S2_S2_S2_S2_S2_S2_S2_S2_S2_S2_S2_S2_S2_S2_S2_S2_S2_S2_S2_S2_S2_S2_ll.has_indirect_call, 0
	.section	.AMDGPU.csdata,"",@progbits
; Kernel info:
; codeLenInByte = 13656
; TotalNumSgprs: 56
; NumVgprs: 256
; ScratchSize: 644
; MemoryBound: 0
; FloatMode: 240
; IeeeMode: 1
; LDSByteSize: 0 bytes/workgroup (compile time only)
; SGPRBlocks: 6
; VGPRBlocks: 63
; NumSGPRsForWavesPerEU: 56
; NumVGPRsForWavesPerEU: 256
; Occupancy: 1
; WaveLimiterHint : 0
; COMPUTE_PGM_RSRC2:SCRATCH_EN: 1
; COMPUTE_PGM_RSRC2:USER_SGPR: 6
; COMPUTE_PGM_RSRC2:TRAP_HANDLER: 0
; COMPUTE_PGM_RSRC2:TGID_X_EN: 1
; COMPUTE_PGM_RSRC2:TGID_Y_EN: 0
; COMPUTE_PGM_RSRC2:TGID_Z_EN: 0
; COMPUTE_PGM_RSRC2:TIDIG_COMP_CNT: 0
	.section	.text._ZN8rajaperf17lambda_hip_forallILm256EZNS_4apps6EDGE3D17runHipVariantImplILm256EEEvNS_9VariantIDEEUllE_EEvllT0_,"axG",@progbits,_ZN8rajaperf17lambda_hip_forallILm256EZNS_4apps6EDGE3D17runHipVariantImplILm256EEEvNS_9VariantIDEEUllE_EEvllT0_,comdat
	.protected	_ZN8rajaperf17lambda_hip_forallILm256EZNS_4apps6EDGE3D17runHipVariantImplILm256EEEvNS_9VariantIDEEUllE_EEvllT0_ ; -- Begin function _ZN8rajaperf17lambda_hip_forallILm256EZNS_4apps6EDGE3D17runHipVariantImplILm256EEEvNS_9VariantIDEEUllE_EEvllT0_
	.globl	_ZN8rajaperf17lambda_hip_forallILm256EZNS_4apps6EDGE3D17runHipVariantImplILm256EEEvNS_9VariantIDEEUllE_EEvllT0_
	.p2align	8
	.type	_ZN8rajaperf17lambda_hip_forallILm256EZNS_4apps6EDGE3D17runHipVariantImplILm256EEEvNS_9VariantIDEEUllE_EEvllT0_,@function
_ZN8rajaperf17lambda_hip_forallILm256EZNS_4apps6EDGE3D17runHipVariantImplILm256EEEvNS_9VariantIDEEUllE_EEvllT0_: ; @_ZN8rajaperf17lambda_hip_forallILm256EZNS_4apps6EDGE3D17runHipVariantImplILm256EEEvNS_9VariantIDEEUllE_EEvllT0_
; %bb.0:
	s_mov_b64 s[26:27], s[2:3]
	s_mov_b64 s[24:25], s[0:1]
	s_load_dwordx4 s[0:3], s[4:5], 0x0
	s_add_u32 s24, s24, s7
	s_mov_b32 s7, 0
	s_addc_u32 s25, s25, 0
	s_lshl_b64 s[6:7], s[6:7], 8
	s_waitcnt lgkmcnt(0)
	s_add_u32 s0, s0, s6
	s_addc_u32 s1, s1, s7
	v_mov_b32_e32 v1, s1
	v_add_co_u32_e32 v0, vcc, s0, v0
	v_addc_co_u32_e32 v1, vcc, 0, v1, vcc
	v_cmp_gt_i64_e32 vcc, s[2:3], v[0:1]
	s_and_saveexec_b64 s[0:1], vcc
	s_cbranch_execz .LBB1_10
; %bb.1:
	s_load_dwordx16 s[8:23], s[4:5], 0x10
	v_lshlrev_b64 v[61:62], 3, v[0:1]
	s_load_dwordx16 s[36:51], s[4:5], 0x50
	s_load_dwordx2 s[2:3], s[4:5], 0xd0
	s_mov_b32 s6, 0x4ad4b81f
	s_waitcnt lgkmcnt(0)
	v_mov_b32_e32 v1, s9
	v_add_co_u32_e32 v0, vcc, s8, v61
	v_addc_co_u32_e32 v1, vcc, v1, v62, vcc
	v_mov_b32_e32 v3, s11
	v_add_co_u32_e32 v2, vcc, s10, v61
	v_addc_co_u32_e32 v3, vcc, v3, v62, vcc
	;; [unrolled: 3-line block ×14, first 2 shown]
	s_load_dwordx16 s[8:23], s[4:5], 0x90
	v_mov_b32_e32 v29, s49
	v_add_co_u32_e32 v28, vcc, s48, v61
	v_addc_co_u32_e32 v29, vcc, v29, v62, vcc
	v_mov_b32_e32 v31, s51
	v_add_co_u32_e32 v30, vcc, s50, v61
	v_addc_co_u32_e32 v31, vcc, v31, v62, vcc
	global_load_dwordx2 v[0:1], v[0:1], off
	s_waitcnt lgkmcnt(0)
	v_mov_b32_e32 v41, s17
	global_load_dwordx2 v[2:3], v[2:3], off
	v_mov_b32_e32 v43, s19
	global_load_dwordx2 v[4:5], v[4:5], off
	;; [unrolled: 2-line block ×4, first 2 shown]
	s_mov_b32 s4, 0x74df99c7
	global_load_dwordx2 v[10:11], v[10:11], off
	s_mov_b32 s5, 0x3fcb0cb1
	global_load_dwordx2 v[12:13], v[12:13], off
	v_mov_b32_e32 v96, 0
	global_load_dwordx2 v[14:15], v[14:15], off
	s_nop 0
	global_load_dwordx2 v[32:33], v[18:19], off
	global_load_dwordx2 v[34:35], v[26:27], off
	;; [unrolled: 1-line block ×4, first 2 shown]
	s_nop 0
	global_load_dwordx2 v[16:17], v[28:29], off
	global_load_dwordx2 v[18:19], v[22:23], off
	;; [unrolled: 1-line block ×4, first 2 shown]
	v_mov_b32_e32 v23, s9
	v_add_co_u32_e32 v22, vcc, s8, v61
	v_addc_co_u32_e32 v23, vcc, v23, v62, vcc
	v_mov_b32_e32 v25, s11
	v_add_co_u32_e32 v24, vcc, s10, v61
	v_addc_co_u32_e32 v25, vcc, v25, v62, vcc
	;; [unrolled: 3-line block ×4, first 2 shown]
	v_add_co_u32_e32 v40, vcc, s16, v61
	v_addc_co_u32_e32 v41, vcc, v41, v62, vcc
	v_add_co_u32_e32 v42, vcc, s18, v61
	v_addc_co_u32_e32 v43, vcc, v43, v62, vcc
	;; [unrolled: 2-line block ×3, first 2 shown]
	global_load_dwordx2 v[46:47], v[24:25], off
	global_load_dwordx2 v[48:49], v[42:43], off
	;; [unrolled: 1-line block ×7, first 2 shown]
	v_add_co_u32_e32 v22, vcc, s22, v61
	buffer_store_dword v61, off, s[24:27], 0 offset:632 ; 4-byte Folded Spill
	s_nop 0
	buffer_store_dword v62, off, s[24:27], 0 offset:636 ; 4-byte Folded Spill
	s_mov_b32 s8, 0xa2c8198e
	v_mov_b32_e32 v28, 0
	v_mov_b32_e32 v78, 0
	;; [unrolled: 1-line block ×28, first 2 shown]
	s_waitcnt vmcnt(23)
	v_add_f64 v[30:31], v[2:3], -v[0:1]
	v_mov_b32_e32 v146, 0
	s_waitcnt vmcnt(22)
	v_add_f64 v[40:41], v[4:5], -v[2:3]
	v_mov_b32_e32 v168, 0
	s_waitcnt vmcnt(21)
	v_add_f64 v[44:45], v[6:7], -v[0:1]
	v_add_f64 v[42:43], v[4:5], -v[6:7]
	v_mov_b32_e32 v150, 0
	v_mov_b32_e32 v236, 0
	s_waitcnt vmcnt(19)
	v_add_f64 v[24:25], v[10:11], -v[2:3]
	v_mov_b32_e32 v130, 0
	s_waitcnt vmcnt(18)
	v_add_f64 v[2:3], v[12:13], -v[4:5]
	v_mov_b32_e32 v142, 0
	v_mov_b32_e32 v158, 0
	v_mov_b32_e32 v166, 0
	s_waitcnt vmcnt(9)
	v_add_f64 v[66:67], v[26:27], -v[20:21]
	v_add_f64 v[68:69], v[16:17], -v[26:27]
	v_mov_b32_e32 v174, 0
	v_mov_b32_e32 v182, 0
	;; [unrolled: 1-line block ×27, first 2 shown]
	s_waitcnt vmcnt(6)
	v_add_f64 v[70:71], v[46:47], -v[50:51]
	v_mov_b32_e32 v196, 0
	v_mov_b32_e32 v204, 0
	v_mov_b32_e32 v212, 0
	v_mov_b32_e32 v218, 0
	v_mov_b32_e32 v224, 0
	v_addc_co_u32_e32 v23, vcc, v60, v62, vcc
	global_load_dwordx2 v[22:23], v[22:23], off
	s_nop 0
	buffer_store_dword v24, off, s[24:27], 0 offset:536 ; 4-byte Folded Spill
	s_nop 0
	buffer_store_dword v25, off, s[24:27], 0 offset:540 ; 4-byte Folded Spill
	buffer_store_dword v2, off, s[24:27], 0 offset:544 ; 4-byte Folded Spill
	s_nop 0
	buffer_store_dword v3, off, s[24:27], 0 offset:548 ; 4-byte Folded Spill
	v_add_f64 v[2:3], v[8:9], -v[0:1]
	v_add_f64 v[0:1], v[14:15], -v[6:7]
	buffer_store_dword v2, off, s[24:27], 0 offset:552 ; 4-byte Folded Spill
	s_nop 0
	buffer_store_dword v3, off, s[24:27], 0 offset:556 ; 4-byte Folded Spill
	buffer_store_dword v0, off, s[24:27], 0 offset:560 ; 4-byte Folded Spill
	s_nop 0
	buffer_store_dword v1, off, s[24:27], 0 offset:564 ; 4-byte Folded Spill
	v_add_f64 v[0:1], v[34:35], -v[32:33]
	buffer_store_dword v0, off, s[24:27], 0 offset:568 ; 4-byte Folded Spill
	s_nop 0
	buffer_store_dword v1, off, s[24:27], 0 offset:572 ; 4-byte Folded Spill
	v_add_f64 v[0:1], v[16:17], -v[38:39]
	;; [unrolled: 4-line block ×5, first 2 shown]
	buffer_store_dword v0, off, s[24:27], 0 offset:600 ; 4-byte Folded Spill
	s_nop 0
	buffer_store_dword v1, off, s[24:27], 0 offset:604 ; 4-byte Folded Spill
	s_waitcnt vmcnt(23)
	v_add_f64 v[0:1], v[54:55], -v[52:53]
	buffer_store_dword v0, off, s[24:27], 0 offset:608 ; 4-byte Folded Spill
	s_nop 0
	buffer_store_dword v1, off, s[24:27], 0 offset:612 ; 4-byte Folded Spill
	s_waitcnt vmcnt(23)
	v_add_f64 v[0:1], v[58:59], -v[50:51]
	buffer_store_dword v0, off, s[24:27], 0 offset:616 ; 4-byte Folded Spill
	s_nop 0
	buffer_store_dword v1, off, s[24:27], 0 offset:620 ; 4-byte Folded Spill
	v_add_f64 v[46:47], v[52:53], -v[46:47]
	v_add_f64 v[52:53], v[52:53], -v[56:57]
	;; [unrolled: 1-line block ×3, first 2 shown]
	v_mov_b32_e32 v24, 0
	s_waitcnt vmcnt(22)
	v_add_f64 v[0:1], v[22:23], -v[56:57]
	v_add_f64 v[56:57], v[48:49], -v[58:59]
	;; [unrolled: 1-line block ×4, first 2 shown]
	v_mov_b32_e32 v26, 0
	v_mov_b32_e32 v54, 0
	;; [unrolled: 1-line block ×8, first 2 shown]
	v_add_f64 v[60:61], v[10:11], -v[8:9]
	v_add_f64 v[62:63], v[14:15], -v[8:9]
	;; [unrolled: 1-line block ×11, first 2 shown]
	s_mov_b64 s[0:1], -1
	s_mov_b32 s7, 0x358dee7a
	s_mov_b32 s9, 0x3fe93cd3
	v_mov_b32_e32 v97, 0
	v_mov_b32_e32 v25, 0
	;; [unrolled: 1-line block ×78, first 2 shown]
	s_mov_b64 s[10:11], s[4:5]
	buffer_store_dword v0, off, s[24:27], 0 offset:624 ; 4-byte Folded Spill
	s_nop 0
	buffer_store_dword v1, off, s[24:27], 0 offset:628 ; 4-byte Folded Spill
	buffer_store_dword v30, off, s[24:27], 0 offset:344 ; 4-byte Folded Spill
	s_nop 0
	buffer_store_dword v31, off, s[24:27], 0 offset:348 ; 4-byte Folded Spill
	;; [unrolled: 3-line block ×25, first 2 shown]
.LBB1_2:                                ; =>This Loop Header: Depth=1
                                        ;     Child Loop BB1_3 Depth 2
                                        ;       Child Loop BB1_4 Depth 3
	v_add_f64 v[74:75], -s[10:11], 1.0
	s_xor_b64 s[12:13], s[0:1], -1
	s_mov_b64 s[0:1], -1
	s_mov_b64 s[14:15], s[4:5]
.LBB1_3:                                ;   Parent Loop BB1_2 Depth=1
                                        ; =>  This Loop Header: Depth=2
                                        ;       Child Loop BB1_4 Depth 3
	s_waitcnt vmcnt(7)
	buffer_store_dword v88, off, s[24:27], 0 offset:40 ; 4-byte Folded Spill
	s_waitcnt vmcnt(7)
	buffer_store_dword v89, off, s[24:27], 0 offset:44 ; 4-byte Folded Spill
	buffer_store_dword v86, off, s[24:27], 0 offset:32 ; 4-byte Folded Spill
	s_nop 0
	buffer_store_dword v87, off, s[24:27], 0 offset:36 ; 4-byte Folded Spill
	buffer_store_dword v156, off, s[24:27], 0 offset:24 ; 4-byte Folded Spill
	s_nop 0
	buffer_store_dword v157, off, s[24:27], 0 offset:28 ; 4-byte Folded Spill
	s_waitcnt vmcnt(11)
	buffer_store_dword v152, off, s[24:27], 0 offset:16 ; 4-byte Folded Spill
	s_waitcnt vmcnt(11)
	;; [unrolled: 2-line block ×5, first 2 shown]
	buffer_store_dword v80, off, s[24:27], 0 ; 4-byte Folded Spill
	s_waitcnt vmcnt(11)
	buffer_store_dword v81, off, s[24:27], 0 offset:4 ; 4-byte Folded Spill
	buffer_load_dword v0, off, s[24:27], 0 offset:536 ; 4-byte Folded Reload
	buffer_load_dword v1, off, s[24:27], 0 offset:540 ; 4-byte Folded Reload
	buffer_load_dword v2, off, s[24:27], 0 offset:568 ; 4-byte Folded Reload
	buffer_load_dword v3, off, s[24:27], 0 offset:572 ; 4-byte Folded Reload
	v_add_f64 v[76:77], -s[14:15], 1.0
	buffer_load_dword v4, off, s[24:27], 0 offset:600 ; 4-byte Folded Reload
	buffer_load_dword v5, off, s[24:27], 0 offset:604 ; 4-byte Folded Reload
	s_mov_b64 s[20:21], -1
	s_xor_b64 s[16:17], s[0:1], -1
	s_mov_b64 s[18:19], s[4:5]
	v_mul_f64 v[6:7], s[10:11], v[76:77]
	v_mul_f64 v[14:15], v[74:75], v[76:77]
	s_waitcnt vmcnt(4)
	v_mul_f64 v[0:1], v[0:1], v[6:7]
	s_waitcnt vmcnt(2)
	v_mul_f64 v[2:3], v[2:3], v[6:7]
	buffer_store_dword v6, off, s[24:27], 0 offset:320 ; 4-byte Folded Spill
	s_nop 0
	buffer_store_dword v7, off, s[24:27], 0 offset:324 ; 4-byte Folded Spill
	s_waitcnt vmcnt(2)
	v_mul_f64 v[4:5], v[4:5], v[6:7]
	v_mov_b32_e32 v6, s14
	v_mov_b32_e32 v7, s15
	v_mul_f64 v[16:17], s[10:11], v[6:7]
	buffer_load_dword v6, off, s[24:27], 0 offset:552 ; 4-byte Folded Reload
	buffer_load_dword v7, off, s[24:27], 0 offset:556 ; 4-byte Folded Reload
	s_waitcnt vmcnt(0)
	v_fma_f64 v[0:1], v[6:7], v[14:15], v[0:1]
	buffer_load_dword v6, off, s[24:27], 0 offset:584 ; 4-byte Folded Reload
	buffer_load_dword v7, off, s[24:27], 0 offset:588 ; 4-byte Folded Reload
	s_waitcnt vmcnt(0)
	v_fma_f64 v[2:3], v[6:7], v[14:15], v[2:3]
	;; [unrolled: 4-line block ×3, first 2 shown]
	buffer_load_dword v6, off, s[24:27], 0 offset:544 ; 4-byte Folded Reload
	buffer_load_dword v7, off, s[24:27], 0 offset:548 ; 4-byte Folded Reload
	v_mul_f64 v[14:15], v[74:75], s[14:15]
	s_waitcnt vmcnt(0)
	v_fma_f64 v[0:1], v[6:7], v[16:17], v[0:1]
	buffer_load_dword v6, off, s[24:27], 0 offset:576 ; 4-byte Folded Reload
	buffer_load_dword v7, off, s[24:27], 0 offset:580 ; 4-byte Folded Reload
	s_waitcnt vmcnt(0)
	v_fma_f64 v[2:3], v[6:7], v[16:17], v[2:3]
	buffer_load_dword v6, off, s[24:27], 0 offset:608 ; 4-byte Folded Reload
	buffer_load_dword v7, off, s[24:27], 0 offset:612 ; 4-byte Folded Reload
	s_nop 0
	buffer_store_dword v16, off, s[24:27], 0 offset:328 ; 4-byte Folded Spill
	s_nop 0
	buffer_store_dword v17, off, s[24:27], 0 offset:332 ; 4-byte Folded Spill
	s_waitcnt vmcnt(2)
	v_fma_f64 v[4:5], v[6:7], v[16:17], v[4:5]
	buffer_load_dword v6, off, s[24:27], 0 offset:560 ; 4-byte Folded Reload
	buffer_load_dword v7, off, s[24:27], 0 offset:564 ; 4-byte Folded Reload
	s_waitcnt vmcnt(0)
	v_fma_f64 v[86:87], v[6:7], v[14:15], v[0:1]
	buffer_load_dword v0, off, s[24:27], 0 offset:592 ; 4-byte Folded Reload
	buffer_load_dword v1, off, s[24:27], 0 offset:596 ; 4-byte Folded Reload
	;; [unrolled: 4-line block ×3, first 2 shown]
	s_nop 0
	buffer_store_dword v14, off, s[24:27], 0 offset:336 ; 4-byte Folded Spill
	s_nop 0
	buffer_store_dword v15, off, s[24:27], 0 offset:340 ; 4-byte Folded Spill
	s_waitcnt vmcnt(2)
	v_fma_f64 v[90:91], v[0:1], v[14:15], v[4:5]
.LBB1_4:                                ;   Parent Loop BB1_2 Depth=1
                                        ;     Parent Loop BB1_3 Depth=2
                                        ; =>    This Inner Loop Header: Depth=3
	v_cndmask_b32_e64 v0, 0, 1, s[20:21]
	v_cmp_ne_u32_e64 s[0:1], 1, v0
	v_add_f64 v[0:1], -s[18:19], 1.0
	buffer_store_dword v148, off, s[24:27], 0 offset:312 ; 4-byte Folded Spill
	s_nop 0
	buffer_store_dword v149, off, s[24:27], 0 offset:316 ; 4-byte Folded Spill
	buffer_store_dword v114, off, s[24:27], 0 offset:304 ; 4-byte Folded Spill
	s_nop 0
	buffer_store_dword v115, off, s[24:27], 0 offset:308 ; 4-byte Folded Spill
	;; [unrolled: 3-line block ×34, first 2 shown]
	v_mov_b32_e32 v2, s18
	v_mov_b32_e32 v3, s19
	v_mul_f64 v[18:19], s[10:11], v[2:3]
	v_mul_f64 v[20:21], s[14:15], v[2:3]
	;; [unrolled: 1-line block ×8, first 2 shown]
	v_mov_b32_e32 v161, v143
	v_mov_b32_e32 v160, v142
	;; [unrolled: 1-line block ×4, first 2 shown]
	s_waitcnt vmcnt(62)
	v_mul_f64 v[2:3], v[42:43], v[26:27]
	v_mul_f64 v[4:5], v[38:39], v[26:27]
	;; [unrolled: 1-line block ×3, first 2 shown]
	v_mov_b32_e32 v151, v141
	v_mov_b32_e32 v150, v140
	v_mov_b32_e32 v153, v131
	v_mov_b32_e32 v152, v130
	v_fma_f64 v[2:3], v[30:31], v[16:17], v[2:3]
	v_fma_f64 v[4:5], v[12:13], v[16:17], v[4:5]
	;; [unrolled: 1-line block ×3, first 2 shown]
	v_mul_f64 v[12:13], v[50:51], v[14:15]
	v_fma_f64 v[2:3], v[60:61], v[22:23], v[2:3]
	v_fma_f64 v[4:5], v[64:65], v[22:23], v[4:5]
	;; [unrolled: 1-line block ×5, first 2 shown]
	v_mul_f64 v[8:9], v[44:45], v[14:15]
	v_fma_f64 v[6:7], v[72:73], v[20:21], v[6:7]
	v_fma_f64 v[12:13], v[58:59], v[24:25], v[12:13]
	;; [unrolled: 1-line block ×5, first 2 shown]
	v_mul_f64 v[48:49], v[88:89], v[2:3]
	v_fma_f64 v[8:9], v[62:63], v[24:25], v[8:9]
	v_mul_f64 v[30:31], v[4:5], v[12:13]
	v_fma_f64 v[48:49], v[86:87], v[4:5], -v[48:49]
	v_fma_f64 v[8:9], v[10:11], v[18:19], v[8:9]
	v_mul_f64 v[10:11], v[36:37], v[14:15]
	v_mul_f64 v[36:37], v[8:9], v[4:5]
	v_fma_f64 v[10:11], v[32:33], v[28:29], v[10:11]
	v_fma_f64 v[10:11], v[66:67], v[24:25], v[10:11]
	;; [unrolled: 1-line block ×3, first 2 shown]
	v_mul_f64 v[32:33], v[10:11], v[6:7]
	v_mul_f64 v[38:39], v[2:3], v[10:11]
	;; [unrolled: 1-line block ×4, first 2 shown]
	v_fma_f64 v[32:33], v[4:5], v[12:13], -v[32:33]
	v_fma_f64 v[46:47], v[88:89], v[8:9], -v[46:47]
	;; [unrolled: 1-line block ×3, first 2 shown]
	v_mul_f64 v[34:35], v[8:9], v[6:7]
	v_fma_f64 v[30:31], v[88:89], v[34:35], v[30:31]
	v_mul_f64 v[34:35], v[2:3], v[12:13]
	v_fma_f64 v[30:31], -v[88:89], v[34:35], v[30:31]
	v_fma_f64 v[34:35], v[8:9], v[6:7], -v[34:35]
	v_fma_f64 v[30:31], -v[90:91], v[36:37], v[30:31]
	v_fma_f64 v[36:37], v[2:3], v[10:11], -v[36:37]
	v_fma_f64 v[248:249], v[90:91], v[38:39], v[30:31]
	v_add_f64 v[30:31], v[248:249], s[6:7]
	v_div_scale_f64 v[38:39], s[20:21], v[30:31], v[30:31], 1.0
	v_rcp_f64_e32 v[40:41], v[38:39]
	v_fma_f64 v[42:43], -v[38:39], v[40:41], 1.0
	v_fma_f64 v[40:41], v[40:41], v[42:43], v[40:41]
	v_fma_f64 v[42:43], -v[38:39], v[40:41], 1.0
	v_fma_f64 v[40:41], v[40:41], v[42:43], v[40:41]
	v_div_scale_f64 v[42:43], vcc, 1.0, v[30:31], 1.0
	v_mul_f64 v[44:45], v[42:43], v[40:41]
	v_fma_f64 v[38:39], -v[38:39], v[44:45], v[42:43]
	v_mul_f64 v[42:43], v[90:91], v[8:9]
	s_nop 0
	v_div_fmas_f64 v[38:39], v[38:39], v[40:41], v[44:45]
	v_mul_f64 v[40:41], v[90:91], v[4:5]
	v_mul_f64 v[44:45], v[86:87], v[6:7]
	v_fma_f64 v[42:43], v[86:87], v[12:13], -v[42:43]
	v_fma_f64 v[40:41], v[88:89], v[6:7], -v[40:41]
	;; [unrolled: 1-line block ×3, first 2 shown]
	v_div_fixup_f64 v[30:31], v[38:39], v[30:31], 1.0
	v_mul_f64 v[38:39], v[88:89], v[12:13]
	v_mul_f64 v[40:41], v[40:41], v[30:31]
	v_fma_f64 v[38:39], v[90:91], v[10:11], -v[38:39]
	v_mul_f64 v[32:33], v[32:33], v[30:31]
	v_mul_f64 v[44:45], v[44:45], v[30:31]
	v_mul_f64 v[42:43], v[42:43], v[30:31]
	v_mul_f64 v[34:35], v[34:35], v[30:31]
	v_mul_f64 v[48:49], v[48:49], v[30:31]
	v_mul_f64 v[46:47], v[46:47], v[30:31]
	v_mul_f64 v[50:51], v[40:41], 0
	v_mul_f64 v[38:39], v[38:39], v[30:31]
	v_mul_f64 v[30:31], v[36:37], v[30:31]
	v_add_f64 v[36:37], |v[248:249]|, s[6:7]
	v_ldexp_f64 v[248:249], |v[248:249]|, -3
	v_fma_f64 v[52:53], v[16:17], v[38:39], v[50:51]
	v_fma_f64 v[142:143], v[32:33], 0, v[52:53]
	v_mul_f64 v[52:53], v[44:45], 0
	v_fma_f64 v[54:55], v[16:17], v[42:43], v[52:53]
	v_fma_f64 v[146:147], v[34:35], 0, v[54:55]
	v_mul_f64 v[54:55], v[48:49], 0
	v_fma_f64 v[16:17], v[16:17], v[46:47], v[54:55]
	v_fma_f64 v[144:145], v[30:31], 0, v[16:17]
	;; [unrolled: 1-line block ×20, first 2 shown]
	v_mul_f64 v[16:17], v[38:39], 0
	v_fma_f64 v[20:21], v[14:15], v[40:41], v[16:17]
	v_fma_f64 v[118:119], v[32:33], 0, v[20:21]
	v_mul_f64 v[20:21], v[42:43], 0
	v_fma_f64 v[22:23], v[14:15], v[44:45], v[20:21]
	v_fma_f64 v[122:123], v[34:35], 0, v[22:23]
	;; [unrolled: 3-line block ×3, first 2 shown]
	v_fma_f64 v[14:15], v[28:29], v[40:41], v[16:17]
	v_fma_f64 v[110:111], v[32:33], 0, v[14:15]
	;; [unrolled: 1-line block ×16, first 2 shown]
	v_mul_f64 v[20:21], v[74:75], v[76:77]
	v_fma_f64 v[96:97], v[34:35], 0, v[14:15]
	v_fma_f64 v[14:15], v[18:19], v[48:49], v[22:23]
	;; [unrolled: 1-line block ×8, first 2 shown]
	buffer_load_dword v20, off, s[24:27], 0 offset:320 ; 4-byte Folded Reload
	buffer_load_dword v21, off, s[24:27], 0 offset:324 ; 4-byte Folded Reload
	s_waitcnt vmcnt(0)
	v_fma_f64 v[66:67], v[20:21], v[32:33], v[14:15]
	v_fma_f64 v[70:71], v[20:21], v[34:35], v[16:17]
	;; [unrolled: 1-line block ×3, first 2 shown]
	buffer_load_dword v20, off, s[24:27], 0 offset:336 ; 4-byte Folded Reload
	buffer_load_dword v21, off, s[24:27], 0 offset:340 ; 4-byte Folded Reload
	s_waitcnt vmcnt(0)
	v_fma_f64 v[52:53], v[20:21], v[32:33], v[14:15]
	v_fma_f64 v[58:59], v[20:21], v[34:35], v[16:17]
	;; [unrolled: 1-line block ×3, first 2 shown]
	buffer_load_dword v20, off, s[24:27], 0 offset:328 ; 4-byte Folded Reload
	buffer_load_dword v21, off, s[24:27], 0 offset:332 ; 4-byte Folded Reload
	s_waitcnt vmcnt(0)
	v_fma_f64 v[42:43], v[20:21], v[32:33], v[14:15]
	v_div_scale_f64 v[14:15], s[20:21], v[36:37], v[36:37], 1.0
	v_fma_f64 v[48:49], v[20:21], v[34:35], v[16:17]
	v_fma_f64 v[44:45], v[20:21], v[30:31], v[18:19]
	s_mov_b64 s[20:21], 0
	v_rcp_f64_e32 v[16:17], v[14:15]
	v_fma_f64 v[18:19], -v[14:15], v[16:17], 1.0
	v_fma_f64 v[16:17], v[16:17], v[18:19], v[16:17]
	v_fma_f64 v[18:19], -v[14:15], v[16:17], 1.0
	v_fma_f64 v[16:17], v[16:17], v[18:19], v[16:17]
	v_div_scale_f64 v[18:19], vcc, 1.0, v[36:37], 1.0
	v_mul_f64 v[20:21], v[18:19], v[16:17]
	v_fma_f64 v[14:15], -v[14:15], v[20:21], v[18:19]
	s_nop 1
	v_div_fmas_f64 v[14:15], v[14:15], v[16:17], v[20:21]
	s_and_b64 vcc, exec, s[0:1]
	v_div_fixup_f64 v[14:15], v[14:15], v[36:37], 1.0
	v_mul_f64 v[56:57], v[2:3], v[14:15]
	v_mul_f64 v[2:3], v[8:9], v[14:15]
	;; [unrolled: 1-line block ×10, first 2 shown]
	v_mul_f64 v[12:13], v[2:3], -v[76:77]
	v_mul_f64 v[184:185], v[2:3], -s[14:15]
	v_mul_f64 v[26:27], v[76:77], v[2:3]
	v_mul_f64 v[220:221], s[14:15], v[2:3]
	v_mul_f64 v[16:17], v[4:5], -v[76:77]
	v_mul_f64 v[188:189], v[4:5], -s[14:15]
	v_fma_f64 v[10:11], v[2:3], -v[76:77], v[8:9]
	v_mul_f64 v[32:33], v[76:77], v[4:5]
	v_mul_f64 v[226:227], s[14:15], v[4:5]
	;; [unrolled: 1-line block ×3, first 2 shown]
	v_mul_f64 v[176:177], v[6:7], -v[76:77]
	v_mul_f64 v[200:201], v[6:7], -s[14:15]
	v_mul_f64 v[208:209], v[76:77], v[6:7]
	v_mul_f64 v[250:251], s[14:15], v[6:7]
	v_fma_f64 v[106:107], v[0:1], v[154:155], v[10:11]
	v_mul_f64 v[10:11], v[156:157], 0
	v_fma_f64 v[14:15], v[4:5], -v[76:77], v[10:11]
	v_fma_f64 v[114:115], v[0:1], v[162:163], v[14:15]
	v_mul_f64 v[14:15], v[170:171], 0
	v_fma_f64 v[18:19], v[6:7], -v[76:77], v[14:15]
	v_fma_f64 v[108:109], v[0:1], v[148:149], v[18:19]
	v_fma_f64 v[18:19], v[2:3], -s[14:15], v[8:9]
	v_fma_f64 v[82:83], -v[154:155], v[0:1], v[18:19]
	v_fma_f64 v[18:19], v[4:5], -s[14:15], v[10:11]
	v_fma_f64 v[98:99], -v[162:163], v[0:1], v[18:19]
	;; [unrolled: 2-line block ×3, first 2 shown]
	v_fma_f64 v[18:19], v[76:77], v[2:3], v[8:9]
	v_fma_f64 v[8:9], s[14:15], v[2:3], v[8:9]
	v_mul_f64 v[2:3], v[2:3], 0
	v_fma_f64 v[38:39], s[18:19], v[154:155], v[18:19]
	v_fma_f64 v[28:29], -v[154:155], s[18:19], v[8:9]
	v_fma_f64 v[8:9], s[14:15], v[4:5], v[10:11]
	v_fma_f64 v[18:19], v[76:77], v[4:5], v[10:11]
	v_fma_f64 v[34:35], -v[162:163], s[18:19], v[8:9]
	v_fma_f64 v[8:9], s[14:15], v[6:7], v[14:15]
	v_fma_f64 v[62:63], s[18:19], v[162:163], v[18:19]
	;; [unrolled: 1-line block ×3, first 2 shown]
	v_fma_f64 v[30:31], -v[148:149], s[18:19], v[8:9]
	v_fma_f64 v[8:9], v[74:75], v[56:57], v[2:3]
	v_fma_f64 v[46:47], s[18:19], v[148:149], v[18:19]
	v_fma_f64 v[20:21], v[154:155], -v[0:1], v[8:9]
	v_mul_f64 v[8:9], v[4:5], 0
	v_fma_f64 v[4:5], v[74:75], v[156:157], v[8:9]
	v_fma_f64 v[24:25], v[162:163], -v[0:1], v[4:5]
	v_fma_f64 v[4:5], v[74:75], v[170:171], v[36:37]
	v_fma_f64 v[22:23], v[148:149], -v[0:1], v[4:5]
	v_fma_f64 v[4:5], s[10:11], v[56:57], v[2:3]
	v_fma_f64 v[10:11], v[0:1], v[154:155], v[4:5]
	;; [unrolled: 1-line block ×6, first 2 shown]
	v_fma_f64 v[0:1], -v[56:57], v[74:75], v[2:3]
	v_fma_f64 v[64:65], v[154:155], -s[18:19], v[0:1]
	v_fma_f64 v[0:1], -v[156:157], v[74:75], v[8:9]
	v_fma_f64 v[6:7], v[162:163], -s[18:19], v[0:1]
	v_fma_f64 v[0:1], -v[170:171], v[74:75], v[36:37]
	v_fma_f64 v[4:5], v[148:149], -s[18:19], v[0:1]
	v_fma_f64 v[0:1], -v[56:57], s[10:11], v[2:3]
	v_fma_f64 v[2:3], v[156:157], -s[10:11], v[16:17]
	v_fma_f64 v[40:41], s[18:19], v[154:155], v[0:1]
	v_fma_f64 v[0:1], -v[156:157], s[10:11], v[8:9]
	v_fma_f64 v[16:17], v[162:163], 0, v[2:3]
	v_fma_f64 v[2:3], v[170:171], -s[10:11], v[176:177]
	v_fma_f64 v[60:61], s[18:19], v[162:163], v[0:1]
	v_fma_f64 v[0:1], -v[170:171], s[10:11], v[36:37]
	v_fma_f64 v[8:9], v[148:149], 0, v[2:3]
	v_fma_f64 v[2:3], v[74:75], v[56:57], v[220:221]
	;; [unrolled: 1-line block ×3, first 2 shown]
	v_fma_f64 v[0:1], v[56:57], -v[74:75], v[26:27]
	v_fma_f64 v[252:253], v[154:155], 0, v[2:3]
	v_fma_f64 v[2:3], v[74:75], v[156:157], v[226:227]
	s_mov_b64 s[18:19], s[8:9]
	v_fma_f64 v[26:27], v[154:155], 0, v[0:1]
	v_fma_f64 v[0:1], v[156:157], -v[74:75], v[32:33]
	v_fma_f64 v[2:3], v[162:163], 0, v[2:3]
	v_fma_f64 v[36:37], v[162:163], 0, v[0:1]
	v_fma_f64 v[0:1], v[170:171], -v[74:75], v[208:209]
	v_fma_f64 v[32:33], v[148:149], 0, v[0:1]
	v_fma_f64 v[0:1], v[56:57], -s[10:11], v[12:13]
	v_fma_f64 v[12:13], v[74:75], v[170:171], v[250:251]
	v_fma_f64 v[0:1], v[154:155], 0, v[0:1]
	;; [unrolled: 1-line block ×9, first 2 shown]
	v_mul_f64 v[148:149], v[146:147], v[146:147]
	v_fma_f64 v[148:149], v[142:143], v[142:143], v[148:149]
	v_fma_f64 v[148:149], v[144:145], v[144:145], v[148:149]
	v_fma_f64 v[244:245], v[248:249], v[148:149], v[244:245]
	v_mul_f64 v[148:149], v[146:147], v[140:141]
	v_fma_f64 v[148:149], v[142:143], v[136:137], v[148:149]
	v_fma_f64 v[148:149], v[144:145], v[138:139], v[148:149]
	v_fma_f64 v[242:243], v[248:249], v[148:149], v[242:243]
	v_mul_f64 v[148:149], v[146:147], v[134:135]
	v_fma_f64 v[148:149], v[142:143], v[130:131], v[148:149]
	v_fma_f64 v[148:149], v[144:145], v[132:133], v[148:149]
	v_fma_f64 v[240:241], v[248:249], v[148:149], v[240:241]
	v_mul_f64 v[148:149], v[146:147], v[128:129]
	v_fma_f64 v[148:149], v[142:143], v[124:125], v[148:149]
	v_fma_f64 v[148:149], v[144:145], v[126:127], v[148:149]
	v_fma_f64 v[238:239], v[248:249], v[148:149], v[238:239]
	v_mul_f64 v[148:149], v[146:147], v[122:123]
	v_fma_f64 v[148:149], v[142:143], v[118:119], v[148:149]
	v_fma_f64 v[148:149], v[144:145], v[120:121], v[148:149]
	v_fma_f64 v[234:235], v[248:249], v[148:149], v[234:235]
	v_mul_f64 v[148:149], v[146:147], v[116:117]
	v_fma_f64 v[148:149], v[142:143], v[110:111], v[148:149]
	v_fma_f64 v[148:149], v[144:145], v[112:113], v[148:149]
	v_fma_f64 v[230:231], v[248:249], v[148:149], v[230:231]
	v_mul_f64 v[148:149], v[146:147], v[104:105]
	v_fma_f64 v[148:149], v[142:143], v[100:101], v[148:149]
	v_fma_f64 v[148:149], v[144:145], v[102:103], v[148:149]
	v_fma_f64 v[224:225], v[248:249], v[148:149], v[224:225]
	v_mul_f64 v[148:149], v[146:147], v[96:97]
	v_fma_f64 v[148:149], v[142:143], v[84:85], v[148:149]
	v_fma_f64 v[148:149], v[144:145], v[92:93], v[148:149]
	v_fma_f64 v[218:219], v[248:249], v[148:149], v[218:219]
	v_mul_f64 v[148:149], v[146:147], v[78:79]
	v_fma_f64 v[148:149], v[142:143], v[72:73], v[148:149]
	v_fma_f64 v[148:149], v[144:145], v[80:81], v[148:149]
	v_fma_f64 v[212:213], v[248:249], v[148:149], v[212:213]
	v_mul_f64 v[148:149], v[146:147], v[70:71]
	v_fma_f64 v[148:149], v[142:143], v[66:67], v[148:149]
	v_fma_f64 v[148:149], v[144:145], v[68:69], v[148:149]
	v_fma_f64 v[204:205], v[248:249], v[148:149], v[204:205]
	v_mul_f64 v[148:149], v[146:147], v[58:59]
	v_mul_f64 v[146:147], v[146:147], v[48:49]
	v_fma_f64 v[148:149], v[142:143], v[52:53], v[148:149]
	v_fma_f64 v[142:143], v[142:143], v[42:43], v[146:147]
	buffer_load_dword v146, off, s[24:27], 0 offset:32 ; 4-byte Folded Reload
	buffer_load_dword v147, off, s[24:27], 0 offset:36 ; 4-byte Folded Reload
	v_fma_f64 v[148:149], v[144:145], v[54:55], v[148:149]
	v_fma_f64 v[142:143], v[144:145], v[44:45], v[142:143]
	v_mul_f64 v[144:145], v[140:141], v[140:141]
	v_fma_f64 v[196:197], v[248:249], v[148:149], v[196:197]
	buffer_load_dword v148, off, s[24:27], 0 offset:24 ; 4-byte Folded Reload
	buffer_load_dword v149, off, s[24:27], 0 offset:28 ; 4-byte Folded Reload
	v_fma_f64 v[144:145], v[136:137], v[136:137], v[144:145]
	v_fma_f64 v[142:143], v[248:249], v[142:143], v[246:247]
	;; [unrolled: 1-line block ×3, first 2 shown]
	s_waitcnt vmcnt(2)
	v_fma_f64 v[144:145], v[248:249], v[144:145], v[146:147]
	v_mul_f64 v[146:147], v[140:141], v[134:135]
	v_fma_f64 v[146:147], v[136:137], v[130:131], v[146:147]
	v_fma_f64 v[146:147], v[138:139], v[132:133], v[146:147]
	s_waitcnt vmcnt(0)
	v_fma_f64 v[146:147], v[248:249], v[146:147], v[148:149]
	v_mul_f64 v[148:149], v[140:141], v[128:129]
	v_fma_f64 v[148:149], v[136:137], v[124:125], v[148:149]
	v_fma_f64 v[148:149], v[138:139], v[126:127], v[148:149]
	v_fma_f64 v[228:229], v[248:249], v[148:149], v[228:229]
	v_mul_f64 v[148:149], v[140:141], v[122:123]
	v_fma_f64 v[148:149], v[136:137], v[118:119], v[148:149]
	v_fma_f64 v[148:149], v[138:139], v[120:121], v[148:149]
	;; [unrolled: 4-line block ×7, first 2 shown]
	v_fma_f64 v[186:187], v[248:249], v[148:149], v[186:187]
	v_mul_f64 v[148:149], v[140:141], v[58:59]
	v_mul_f64 v[140:141], v[140:141], v[48:49]
	v_fma_f64 v[148:149], v[136:137], v[52:53], v[148:149]
	v_fma_f64 v[136:137], v[136:137], v[42:43], v[140:141]
	buffer_load_dword v140, off, s[24:27], 0 offset:40 ; 4-byte Folded Reload
	buffer_load_dword v141, off, s[24:27], 0 offset:44 ; 4-byte Folded Reload
	v_fma_f64 v[148:149], v[138:139], v[54:55], v[148:149]
	v_fma_f64 v[136:137], v[138:139], v[44:45], v[136:137]
	v_mul_f64 v[138:139], v[134:135], v[134:135]
	v_fma_f64 v[178:179], v[248:249], v[148:149], v[178:179]
	buffer_load_dword v148, off, s[24:27], 0 offset:16 ; 4-byte Folded Reload
	buffer_load_dword v149, off, s[24:27], 0 offset:20 ; 4-byte Folded Reload
	v_fma_f64 v[138:139], v[130:131], v[130:131], v[138:139]
	v_fma_f64 v[136:137], v[248:249], v[136:137], v[232:233]
	;; [unrolled: 1-line block ×3, first 2 shown]
	s_waitcnt vmcnt(2)
	v_fma_f64 v[138:139], v[248:249], v[138:139], v[140:141]
	v_mul_f64 v[140:141], v[134:135], v[128:129]
	v_fma_f64 v[140:141], v[130:131], v[124:125], v[140:141]
	v_fma_f64 v[140:141], v[132:133], v[126:127], v[140:141]
	s_waitcnt vmcnt(0)
	v_fma_f64 v[140:141], v[248:249], v[140:141], v[148:149]
	v_mul_f64 v[148:149], v[134:135], v[122:123]
	v_fma_f64 v[148:149], v[130:131], v[118:119], v[148:149]
	v_fma_f64 v[148:149], v[132:133], v[120:121], v[148:149]
	v_fma_f64 v[214:215], v[248:249], v[148:149], v[214:215]
	v_mul_f64 v[148:149], v[134:135], v[116:117]
	v_fma_f64 v[148:149], v[130:131], v[110:111], v[148:149]
	v_fma_f64 v[148:149], v[132:133], v[112:113], v[148:149]
	v_fma_f64 v[206:207], v[248:249], v[148:149], v[206:207]
	v_mul_f64 v[148:149], v[134:135], v[104:105]
	v_fma_f64 v[148:149], v[130:131], v[100:101], v[148:149]
	v_fma_f64 v[148:149], v[132:133], v[102:103], v[148:149]
	v_fma_f64 v[198:199], v[248:249], v[148:149], v[198:199]
	v_mul_f64 v[148:149], v[134:135], v[96:97]
	v_fma_f64 v[148:149], v[130:131], v[84:85], v[148:149]
	v_fma_f64 v[148:149], v[132:133], v[92:93], v[148:149]
	v_fma_f64 v[190:191], v[248:249], v[148:149], v[190:191]
	v_mul_f64 v[148:149], v[134:135], v[78:79]
	v_fma_f64 v[148:149], v[130:131], v[72:73], v[148:149]
	v_fma_f64 v[148:149], v[132:133], v[80:81], v[148:149]
	v_fma_f64 v[180:181], v[248:249], v[148:149], v[180:181]
	v_mul_f64 v[148:149], v[134:135], v[70:71]
	v_fma_f64 v[148:149], v[130:131], v[66:67], v[148:149]
	v_fma_f64 v[148:149], v[132:133], v[68:69], v[148:149]
	v_fma_f64 v[172:173], v[248:249], v[148:149], v[172:173]
	v_mul_f64 v[148:149], v[134:135], v[58:59]
	v_mul_f64 v[134:135], v[134:135], v[48:49]
	v_fma_f64 v[148:149], v[130:131], v[52:53], v[148:149]
	v_fma_f64 v[130:131], v[130:131], v[42:43], v[134:135]
	buffer_load_dword v134, off, s[24:27], 0 offset:8 ; 4-byte Folded Reload
	buffer_load_dword v135, off, s[24:27], 0 offset:12 ; 4-byte Folded Reload
	v_fma_f64 v[148:149], v[132:133], v[54:55], v[148:149]
	v_fma_f64 v[130:131], v[132:133], v[44:45], v[130:131]
	v_mul_f64 v[132:133], v[128:129], v[128:129]
	v_fma_f64 v[164:165], v[248:249], v[148:149], v[164:165]
	buffer_load_dword v148, off, s[24:27], 0 ; 4-byte Folded Reload
	buffer_load_dword v149, off, s[24:27], 0 offset:4 ; 4-byte Folded Reload
	v_fma_f64 v[132:133], v[124:125], v[124:125], v[132:133]
	v_fma_f64 v[130:131], v[248:249], v[130:131], v[150:151]
	;; [unrolled: 1-line block ×3, first 2 shown]
	s_waitcnt vmcnt(2)
	v_fma_f64 v[132:133], v[248:249], v[132:133], v[134:135]
	v_mul_f64 v[134:135], v[128:129], v[122:123]
	v_fma_f64 v[134:135], v[124:125], v[118:119], v[134:135]
	v_fma_f64 v[134:135], v[126:127], v[120:121], v[134:135]
	s_waitcnt vmcnt(0)
	v_fma_f64 v[134:135], v[248:249], v[134:135], v[148:149]
	v_mul_f64 v[148:149], v[128:129], v[116:117]
	v_fma_f64 v[148:149], v[124:125], v[110:111], v[148:149]
	v_fma_f64 v[148:149], v[126:127], v[112:113], v[148:149]
	v_fma_f64 v[192:193], v[248:249], v[148:149], v[192:193]
	v_mul_f64 v[148:149], v[128:129], v[104:105]
	v_fma_f64 v[148:149], v[124:125], v[100:101], v[148:149]
	v_fma_f64 v[148:149], v[126:127], v[102:103], v[148:149]
	v_fma_f64 v[182:183], v[248:249], v[148:149], v[182:183]
	v_mul_f64 v[148:149], v[128:129], v[96:97]
	v_fma_f64 v[148:149], v[124:125], v[84:85], v[148:149]
	v_fma_f64 v[148:149], v[126:127], v[92:93], v[148:149]
	v_fma_f64 v[174:175], v[248:249], v[148:149], v[174:175]
	v_mul_f64 v[148:149], v[128:129], v[78:79]
	v_fma_f64 v[148:149], v[124:125], v[72:73], v[148:149]
	v_fma_f64 v[148:149], v[126:127], v[80:81], v[148:149]
	v_fma_f64 v[166:167], v[248:249], v[148:149], v[166:167]
	v_mul_f64 v[148:149], v[128:129], v[70:71]
	v_fma_f64 v[148:149], v[124:125], v[66:67], v[148:149]
	v_fma_f64 v[148:149], v[126:127], v[68:69], v[148:149]
	v_fma_f64 v[158:159], v[248:249], v[148:149], v[158:159]
	v_mul_f64 v[148:149], v[128:129], v[58:59]
	v_mul_f64 v[128:129], v[128:129], v[48:49]
	v_fma_f64 v[148:149], v[124:125], v[52:53], v[148:149]
	v_fma_f64 v[124:125], v[124:125], v[42:43], v[128:129]
	v_mul_f64 v[128:129], v[122:123], v[116:117]
	v_fma_f64 v[148:149], v[126:127], v[54:55], v[148:149]
	v_fma_f64 v[124:125], v[126:127], v[44:45], v[124:125]
	;; [unrolled: 1-line block ×3, first 2 shown]
	v_mul_f64 v[126:127], v[122:123], v[122:123]
	v_fma_f64 v[150:151], v[248:249], v[148:149], v[160:161]
	v_fma_f64 v[124:125], v[248:249], v[124:125], v[152:153]
	buffer_load_dword v152, off, s[24:27], 0 offset:256 ; 4-byte Folded Reload
	buffer_load_dword v153, off, s[24:27], 0 offset:260 ; 4-byte Folded Reload
	v_mul_f64 v[148:149], v[122:123], v[104:105]
	v_fma_f64 v[128:129], v[120:121], v[112:113], v[128:129]
	v_fma_f64 v[126:127], v[118:119], v[118:119], v[126:127]
	;; [unrolled: 1-line block ×7, first 2 shown]
	s_waitcnt vmcnt(0)
	v_fma_f64 v[168:169], v[248:249], v[148:149], v[152:153]
	buffer_load_dword v152, off, s[24:27], 0 offset:248 ; 4-byte Folded Reload
	buffer_load_dword v153, off, s[24:27], 0 offset:252 ; 4-byte Folded Reload
	v_mul_f64 v[148:149], v[122:123], v[96:97]
	v_fma_f64 v[148:149], v[118:119], v[84:85], v[148:149]
	v_fma_f64 v[148:149], v[120:121], v[92:93], v[148:149]
	s_waitcnt vmcnt(0)
	v_fma_f64 v[160:161], v[248:249], v[148:149], v[152:153]
	buffer_load_dword v152, off, s[24:27], 0 offset:240 ; 4-byte Folded Reload
	buffer_load_dword v153, off, s[24:27], 0 offset:244 ; 4-byte Folded Reload
	buffer_load_dword v154, off, s[24:27], 0 offset:232 ; 4-byte Folded Reload
	buffer_load_dword v155, off, s[24:27], 0 offset:236 ; 4-byte Folded Reload
	v_mul_f64 v[148:149], v[122:123], v[78:79]
	buffer_load_dword v156, off, s[24:27], 0 offset:224 ; 4-byte Folded Reload
	buffer_load_dword v157, off, s[24:27], 0 offset:228 ; 4-byte Folded Reload
	v_fma_f64 v[148:149], v[118:119], v[72:73], v[148:149]
	v_fma_f64 v[148:149], v[120:121], v[80:81], v[148:149]
	s_waitcnt vmcnt(4)
	v_fma_f64 v[152:153], v[248:249], v[148:149], v[152:153]
	v_mul_f64 v[148:149], v[122:123], v[70:71]
	v_fma_f64 v[148:149], v[118:119], v[66:67], v[148:149]
	v_fma_f64 v[148:149], v[120:121], v[68:69], v[148:149]
	s_waitcnt vmcnt(2)
	v_fma_f64 v[148:149], v[248:249], v[148:149], v[154:155]
	v_mul_f64 v[154:155], v[122:123], v[58:59]
	v_mul_f64 v[122:123], v[122:123], v[48:49]
	v_fma_f64 v[154:155], v[118:119], v[52:53], v[154:155]
	v_fma_f64 v[118:119], v[118:119], v[42:43], v[122:123]
	;; [unrolled: 1-line block ×4, first 2 shown]
	buffer_load_dword v120, off, s[24:27], 0 offset:216 ; 4-byte Folded Reload
	buffer_load_dword v121, off, s[24:27], 0 offset:220 ; 4-byte Folded Reload
	;; [unrolled: 1-line block ×4, first 2 shown]
	s_waitcnt vmcnt(4)
	v_fma_f64 v[154:155], v[248:249], v[154:155], v[156:157]
	buffer_load_dword v156, off, s[24:27], 0 offset:208 ; 4-byte Folded Reload
	buffer_load_dword v157, off, s[24:27], 0 offset:212 ; 4-byte Folded Reload
	;; [unrolled: 1-line block ×10, first 2 shown]
	s_waitcnt vmcnt(12)
	v_fma_f64 v[118:119], v[248:249], v[118:119], v[120:121]
	v_mul_f64 v[120:121], v[116:117], v[116:117]
	v_fma_f64 v[120:121], v[110:111], v[110:111], v[120:121]
	v_fma_f64 v[120:121], v[112:113], v[112:113], v[120:121]
	s_waitcnt vmcnt(10)
	v_fma_f64 v[120:121], v[248:249], v[120:121], v[122:123]
	v_mul_f64 v[122:123], v[116:117], v[104:105]
	v_fma_f64 v[122:123], v[110:111], v[100:101], v[122:123]
	v_fma_f64 v[122:123], v[112:113], v[102:103], v[122:123]
	;; [unrolled: 5-line block ×5, first 2 shown]
	s_waitcnt vmcnt(2)
	v_fma_f64 v[170:171], v[248:249], v[170:171], v[176:177]
	v_mul_f64 v[176:177], v[116:117], v[58:59]
	v_mul_f64 v[116:117], v[116:117], v[48:49]
	v_fma_f64 v[176:177], v[110:111], v[52:53], v[176:177]
	v_fma_f64 v[110:111], v[110:111], v[42:43], v[116:117]
	;; [unrolled: 1-line block ×4, first 2 shown]
	buffer_load_dword v112, off, s[24:27], 0 offset:296 ; 4-byte Folded Reload
	buffer_load_dword v113, off, s[24:27], 0 offset:300 ; 4-byte Folded Reload
	;; [unrolled: 1-line block ×4, first 2 shown]
	s_waitcnt vmcnt(4)
	v_fma_f64 v[176:177], v[248:249], v[176:177], v[184:185]
	buffer_load_dword v184, off, s[24:27], 0 offset:168 ; 4-byte Folded Reload
	buffer_load_dword v185, off, s[24:27], 0 offset:172 ; 4-byte Folded Reload
	;; [unrolled: 1-line block ×8, first 2 shown]
	s_waitcnt vmcnt(10)
	v_fma_f64 v[110:111], v[248:249], v[110:111], v[112:113]
	v_mul_f64 v[112:113], v[104:105], v[104:105]
	v_fma_f64 v[112:113], v[100:101], v[100:101], v[112:113]
	v_fma_f64 v[112:113], v[102:103], v[102:103], v[112:113]
	s_waitcnt vmcnt(8)
	v_fma_f64 v[112:113], v[248:249], v[112:113], v[116:117]
	v_mul_f64 v[116:117], v[104:105], v[96:97]
	v_fma_f64 v[116:117], v[100:101], v[84:85], v[116:117]
	v_fma_f64 v[116:117], v[102:103], v[92:93], v[116:117]
	;; [unrolled: 5-line block ×4, first 2 shown]
	s_waitcnt vmcnt(2)
	v_fma_f64 v[188:189], v[248:249], v[188:189], v[200:201]
	v_mul_f64 v[200:201], v[104:105], v[58:59]
	v_mul_f64 v[104:105], v[104:105], v[48:49]
	v_fma_f64 v[200:201], v[100:101], v[52:53], v[200:201]
	v_fma_f64 v[100:101], v[100:101], v[42:43], v[104:105]
	;; [unrolled: 1-line block ×4, first 2 shown]
	buffer_load_dword v102, off, s[24:27], 0 offset:144 ; 4-byte Folded Reload
	buffer_load_dword v103, off, s[24:27], 0 offset:148 ; 4-byte Folded Reload
	;; [unrolled: 1-line block ×4, first 2 shown]
	s_waitcnt vmcnt(4)
	v_fma_f64 v[200:201], v[248:249], v[200:201], v[208:209]
	buffer_load_dword v208, off, s[24:27], 0 offset:128 ; 4-byte Folded Reload
	buffer_load_dword v209, off, s[24:27], 0 offset:132 ; 4-byte Folded Reload
	;; [unrolled: 1-line block ×6, first 2 shown]
	s_waitcnt vmcnt(8)
	v_fma_f64 v[100:101], v[248:249], v[100:101], v[102:103]
	v_mul_f64 v[102:103], v[96:97], v[96:97]
	v_fma_f64 v[102:103], v[84:85], v[84:85], v[102:103]
	v_fma_f64 v[102:103], v[92:93], v[92:93], v[102:103]
	s_waitcnt vmcnt(6)
	v_fma_f64 v[102:103], v[248:249], v[102:103], v[104:105]
	v_mul_f64 v[104:105], v[96:97], v[78:79]
	v_fma_f64 v[104:105], v[84:85], v[72:73], v[104:105]
	v_fma_f64 v[104:105], v[92:93], v[80:81], v[104:105]
	;; [unrolled: 5-line block ×3, first 2 shown]
	s_waitcnt vmcnt(2)
	v_fma_f64 v[208:209], v[248:249], v[208:209], v[220:221]
	v_mul_f64 v[220:221], v[96:97], v[58:59]
	v_mul_f64 v[96:97], v[96:97], v[48:49]
	v_fma_f64 v[220:221], v[84:85], v[52:53], v[220:221]
	v_fma_f64 v[84:85], v[84:85], v[42:43], v[96:97]
	;; [unrolled: 1-line block ×4, first 2 shown]
	buffer_load_dword v92, off, s[24:27], 0 offset:272 ; 4-byte Folded Reload
	buffer_load_dword v93, off, s[24:27], 0 offset:276 ; 4-byte Folded Reload
	;; [unrolled: 1-line block ×4, first 2 shown]
	s_waitcnt vmcnt(4)
	v_fma_f64 v[220:221], v[248:249], v[220:221], v[226:227]
	buffer_load_dword v226, off, s[24:27], 0 offset:104 ; 4-byte Folded Reload
	buffer_load_dword v227, off, s[24:27], 0 offset:108 ; 4-byte Folded Reload
	;; [unrolled: 1-line block ×4, first 2 shown]
	s_waitcnt vmcnt(6)
	v_fma_f64 v[84:85], v[248:249], v[84:85], v[92:93]
	v_mul_f64 v[92:93], v[78:79], v[78:79]
	v_fma_f64 v[92:93], v[72:73], v[72:73], v[92:93]
	v_fma_f64 v[92:93], v[80:81], v[80:81], v[92:93]
	s_waitcnt vmcnt(4)
	v_fma_f64 v[92:93], v[248:249], v[92:93], v[96:97]
	v_mul_f64 v[96:97], v[78:79], v[70:71]
	v_fma_f64 v[96:97], v[72:73], v[66:67], v[96:97]
	v_fma_f64 v[96:97], v[80:81], v[68:69], v[96:97]
	s_waitcnt vmcnt(2)
	v_fma_f64 v[96:97], v[248:249], v[96:97], v[226:227]
	v_mul_f64 v[226:227], v[78:79], v[58:59]
	v_mul_f64 v[78:79], v[78:79], v[48:49]
	v_fma_f64 v[226:227], v[72:73], v[52:53], v[226:227]
	v_fma_f64 v[72:73], v[72:73], v[42:43], v[78:79]
	buffer_load_dword v78, off, s[24:27], 0 offset:80 ; 4-byte Folded Reload
	buffer_load_dword v79, off, s[24:27], 0 offset:84 ; 4-byte Folded Reload
	v_fma_f64 v[226:227], v[80:81], v[54:55], v[226:227]
	v_fma_f64 v[72:73], v[80:81], v[44:45], v[72:73]
	buffer_load_dword v80, off, s[24:27], 0 offset:264 ; 4-byte Folded Reload
	buffer_load_dword v81, off, s[24:27], 0 offset:268 ; 4-byte Folded Reload
	s_waitcnt vmcnt(4)
	v_fma_f64 v[226:227], v[248:249], v[226:227], v[232:233]
	buffer_load_dword v232, off, s[24:27], 0 offset:88 ; 4-byte Folded Reload
	buffer_load_dword v233, off, s[24:27], 0 offset:92 ; 4-byte Folded Reload
	s_waitcnt vmcnt(4)
	v_fma_f64 v[72:73], v[248:249], v[72:73], v[78:79]
	v_mul_f64 v[78:79], v[70:71], v[70:71]
	v_fma_f64 v[78:79], v[66:67], v[66:67], v[78:79]
	v_fma_f64 v[78:79], v[68:69], v[68:69], v[78:79]
	s_waitcnt vmcnt(2)
	v_fma_f64 v[78:79], v[248:249], v[78:79], v[80:81]
	v_mul_f64 v[80:81], v[70:71], v[58:59]
	v_mul_f64 v[70:71], v[70:71], v[48:49]
	v_fma_f64 v[80:81], v[66:67], v[52:53], v[80:81]
	v_fma_f64 v[66:67], v[66:67], v[42:43], v[70:71]
	buffer_load_dword v70, off, s[24:27], 0 offset:528 ; 4-byte Folded Reload
	buffer_load_dword v71, off, s[24:27], 0 offset:532 ; 4-byte Folded Reload
	v_fma_f64 v[80:81], v[68:69], v[54:55], v[80:81]
	v_fma_f64 v[66:67], v[68:69], v[44:45], v[66:67]
	buffer_load_dword v68, off, s[24:27], 0 offset:64 ; 4-byte Folded Reload
	buffer_load_dword v69, off, s[24:27], 0 offset:68 ; 4-byte Folded Reload
	s_waitcnt vmcnt(4)
	v_fma_f64 v[80:81], v[248:249], v[80:81], v[232:233]
	buffer_load_dword v232, off, s[24:27], 0 offset:56 ; 4-byte Folded Reload
	buffer_load_dword v233, off, s[24:27], 0 offset:60 ; 4-byte Folded Reload
	s_waitcnt vmcnt(2)
	v_fma_f64 v[66:67], v[248:249], v[66:67], v[68:69]
	v_mul_f64 v[68:69], v[58:59], v[58:59]
	v_mul_f64 v[58:59], v[58:59], v[48:49]
	;; [unrolled: 1-line block ×3, first 2 shown]
	v_fma_f64 v[68:69], v[52:53], v[52:53], v[68:69]
	v_fma_f64 v[52:53], v[52:53], v[42:43], v[58:59]
	;; [unrolled: 1-line block ×3, first 2 shown]
	buffer_load_dword v58, off, s[24:27], 0 offset:504 ; 4-byte Folded Reload
	buffer_load_dword v59, off, s[24:27], 0 offset:508 ; 4-byte Folded Reload
	v_fma_f64 v[68:69], v[54:55], v[54:55], v[68:69]
	v_fma_f64 v[52:53], v[54:55], v[44:45], v[52:53]
	buffer_load_dword v54, off, s[24:27], 0 offset:48 ; 4-byte Folded Reload
	buffer_load_dword v55, off, s[24:27], 0 offset:52 ; 4-byte Folded Reload
	;; [unrolled: 1-line block ×4, first 2 shown]
	v_fma_f64 v[42:43], v[44:45], v[44:45], v[42:43]
	buffer_load_dword v44, off, s[24:27], 0 offset:72 ; 4-byte Folded Reload
	buffer_load_dword v45, off, s[24:27], 0 offset:76 ; 4-byte Folded Reload
	s_waitcnt vmcnt(8)
	v_fma_f64 v[68:69], v[248:249], v[68:69], v[232:233]
	s_waitcnt vmcnt(4)
	v_fma_f64 v[52:53], v[248:249], v[52:53], v[54:55]
	;; [unrolled: 2-line block ×3, first 2 shown]
	v_mul_f64 v[44:45], v[114:115], v[114:115]
	v_fma_f64 v[44:45], v[106:107], v[106:107], v[44:45]
	v_fma_f64 v[44:45], v[108:109], v[108:109], v[44:45]
	v_fma_f64 v[244:245], v[248:249], v[44:45], v[244:245]
	v_mul_f64 v[44:45], v[114:115], v[98:99]
	v_fma_f64 v[44:45], v[106:107], v[82:83], v[44:45]
	v_fma_f64 v[44:45], v[108:109], v[94:95], v[44:45]
	v_fma_f64 v[242:243], v[248:249], v[44:45], v[242:243]
	;; [unrolled: 4-line block ×13, first 2 shown]
	buffer_store_dword v44, off, s[24:27], 0 offset:32 ; 4-byte Folded Spill
	s_nop 0
	buffer_store_dword v45, off, s[24:27], 0 offset:36 ; 4-byte Folded Spill
	v_mul_f64 v[44:45], v[98:99], v[62:63]
	v_fma_f64 v[44:45], v[82:83], v[38:39], v[44:45]
	v_fma_f64 v[44:45], v[94:95], v[46:47], v[44:45]
	;; [unrolled: 1-line block ×3, first 2 shown]
	buffer_store_dword v44, off, s[24:27], 0 offset:24 ; 4-byte Folded Spill
	s_nop 0
	buffer_store_dword v45, off, s[24:27], 0 offset:28 ; 4-byte Folded Spill
	v_mul_f64 v[44:45], v[98:99], v[34:35]
	v_fma_f64 v[44:45], v[82:83], v[28:29], v[44:45]
	v_fma_f64 v[44:45], v[94:95], v[30:31], v[44:45]
	v_fma_f64 v[228:229], v[248:249], v[44:45], v[228:229]
	v_mul_f64 v[44:45], v[98:99], v[24:25]
	v_fma_f64 v[44:45], v[82:83], v[20:21], v[44:45]
	v_fma_f64 v[44:45], v[94:95], v[22:23], v[44:45]
	v_fma_f64 v[222:223], v[248:249], v[44:45], v[222:223]
	;; [unrolled: 4-line block ×10, first 2 shown]
	buffer_store_dword v44, off, s[24:27], 0 offset:40 ; 4-byte Folded Spill
	s_nop 0
	buffer_store_dword v45, off, s[24:27], 0 offset:44 ; 4-byte Folded Spill
	v_mul_f64 v[44:45], v[62:63], v[34:35]
	v_fma_f64 v[44:45], v[38:39], v[28:29], v[44:45]
	v_fma_f64 v[44:45], v[46:47], v[30:31], v[44:45]
	;; [unrolled: 1-line block ×3, first 2 shown]
	buffer_store_dword v44, off, s[24:27], 0 offset:16 ; 4-byte Folded Spill
	s_nop 0
	buffer_store_dword v45, off, s[24:27], 0 offset:20 ; 4-byte Folded Spill
	v_mul_f64 v[44:45], v[62:63], v[24:25]
	v_fma_f64 v[44:45], v[38:39], v[20:21], v[44:45]
	v_fma_f64 v[44:45], v[46:47], v[22:23], v[44:45]
	v_fma_f64 v[214:215], v[248:249], v[44:45], v[214:215]
	v_mul_f64 v[44:45], v[62:63], v[18:19]
	v_fma_f64 v[44:45], v[38:39], v[10:11], v[44:45]
	v_fma_f64 v[44:45], v[46:47], v[14:15], v[44:45]
	v_fma_f64 v[206:207], v[248:249], v[44:45], v[206:207]
	;; [unrolled: 4-line block ×7, first 2 shown]
	v_mul_f64 v[44:45], v[62:63], v[56:57]
	buffer_load_dword v62, off, s[24:27], 0 offset:384 ; 4-byte Folded Reload
	buffer_load_dword v63, off, s[24:27], 0 offset:388 ; 4-byte Folded Reload
	v_fma_f64 v[38:39], v[38:39], v[12:13], v[44:45]
	buffer_load_dword v44, off, s[24:27], 0 offset:368 ; 4-byte Folded Reload
	buffer_load_dword v45, off, s[24:27], 0 offset:372 ; 4-byte Folded Reload
	v_fma_f64 v[38:39], v[46:47], v[250:251], v[38:39]
	;; [unrolled: 3-line block ×3, first 2 shown]
	v_mul_f64 v[38:39], v[34:35], v[34:35]
	v_fma_f64 v[38:39], v[28:29], v[28:29], v[38:39]
	v_fma_f64 v[38:39], v[30:31], v[30:31], v[38:39]
	;; [unrolled: 1-line block ×3, first 2 shown]
	buffer_store_dword v38, off, s[24:27], 0 offset:8 ; 4-byte Folded Spill
	s_nop 0
	buffer_store_dword v39, off, s[24:27], 0 offset:12 ; 4-byte Folded Spill
	v_mul_f64 v[38:39], v[34:35], v[24:25]
	v_fma_f64 v[38:39], v[28:29], v[20:21], v[38:39]
	v_fma_f64 v[38:39], v[30:31], v[22:23], v[38:39]
	;; [unrolled: 1-line block ×3, first 2 shown]
	buffer_store_dword v38, off, s[24:27], 0 ; 4-byte Folded Spill
	s_nop 0
	buffer_store_dword v39, off, s[24:27], 0 offset:4 ; 4-byte Folded Spill
	v_mul_f64 v[38:39], v[34:35], v[18:19]
	v_fma_f64 v[38:39], v[28:29], v[10:11], v[38:39]
	v_fma_f64 v[38:39], v[30:31], v[14:15], v[38:39]
	v_fma_f64 v[192:193], v[248:249], v[38:39], v[192:193]
	v_mul_f64 v[38:39], v[34:35], v[6:7]
	v_fma_f64 v[38:39], v[28:29], v[64:65], v[38:39]
	v_fma_f64 v[38:39], v[30:31], v[4:5], v[38:39]
	v_fma_f64 v[182:183], v[248:249], v[38:39], v[182:183]
	;; [unrolled: 4-line block ×5, first 2 shown]
	v_mul_f64 v[38:39], v[34:35], v[2:3]
	v_mul_f64 v[34:35], v[34:35], v[56:57]
	v_fma_f64 v[38:39], v[28:29], v[252:253], v[38:39]
	v_fma_f64 v[28:29], v[28:29], v[12:13], v[34:35]
	;; [unrolled: 1-line block ×6, first 2 shown]
	v_mul_f64 v[28:29], v[24:25], v[24:25]
	buffer_load_dword v38, off, s[24:27], 0 offset:424 ; 4-byte Folded Reload
	buffer_load_dword v39, off, s[24:27], 0 offset:428 ; 4-byte Folded Reload
	;; [unrolled: 1-line block ×6, first 2 shown]
	v_fma_f64 v[28:29], v[20:21], v[20:21], v[28:29]
	v_fma_f64 v[28:29], v[22:23], v[22:23], v[28:29]
	v_fma_f64 v[236:237], v[248:249], v[28:29], v[126:127]
	v_mul_f64 v[28:29], v[24:25], v[18:19]
	v_fma_f64 v[28:29], v[20:21], v[10:11], v[28:29]
	v_fma_f64 v[28:29], v[22:23], v[14:15], v[28:29]
	v_fma_f64 v[150:151], v[248:249], v[28:29], v[128:129]
	v_mul_f64 v[28:29], v[24:25], v[6:7]
	;; [unrolled: 4-line block ×6, first 2 shown]
	v_mul_f64 v[24:25], v[24:25], v[56:57]
	v_fma_f64 v[28:29], v[20:21], v[252:253], v[28:29]
	v_fma_f64 v[20:21], v[20:21], v[12:13], v[24:25]
	v_fma_f64 v[28:29], v[22:23], v[254:255], v[28:29]
	v_fma_f64 v[20:21], v[22:23], v[250:251], v[20:21]
	v_fma_f64 v[124:125], v[248:249], v[28:29], v[154:155]
	v_fma_f64 v[118:119], v[248:249], v[20:21], v[118:119]
	v_mul_f64 v[20:21], v[18:19], v[18:19]
	v_fma_f64 v[20:21], v[10:11], v[10:11], v[20:21]
	v_fma_f64 v[20:21], v[14:15], v[14:15], v[20:21]
	v_fma_f64 v[148:149], v[248:249], v[20:21], v[120:121]
	v_mul_f64 v[20:21], v[18:19], v[6:7]
	v_fma_f64 v[20:21], v[10:11], v[64:65], v[20:21]
	v_fma_f64 v[20:21], v[14:15], v[4:5], v[20:21]
	v_fma_f64 v[144:145], v[248:249], v[20:21], v[122:123]
	;; [unrolled: 4-line block ×5, first 2 shown]
	v_mul_f64 v[20:21], v[18:19], v[2:3]
	v_mul_f64 v[18:19], v[18:19], v[56:57]
	v_fma_f64 v[20:21], v[10:11], v[252:253], v[20:21]
	v_fma_f64 v[10:11], v[10:11], v[12:13], v[18:19]
	;; [unrolled: 1-line block ×6, first 2 shown]
	v_mul_f64 v[10:11], v[6:7], v[6:7]
	v_fma_f64 v[10:11], v[64:65], v[64:65], v[10:11]
	v_fma_f64 v[10:11], v[4:5], v[4:5], v[10:11]
	v_fma_f64 v[134:135], v[248:249], v[10:11], v[112:113]
	v_mul_f64 v[10:11], v[6:7], v[60:61]
	v_fma_f64 v[10:11], v[64:65], v[40:41], v[10:11]
	v_fma_f64 v[10:11], v[4:5], v[50:51], v[10:11]
	v_fma_f64 v[126:127], v[248:249], v[10:11], v[116:117]
	;; [unrolled: 4-line block ×4, first 2 shown]
	v_mul_f64 v[10:11], v[6:7], v[2:3]
	v_mul_f64 v[6:7], v[6:7], v[56:57]
	v_fma_f64 v[10:11], v[64:65], v[252:253], v[10:11]
	v_fma_f64 v[6:7], v[64:65], v[12:13], v[6:7]
	;; [unrolled: 1-line block ×6, first 2 shown]
	v_mul_f64 v[4:5], v[60:61], v[60:61]
	buffer_load_dword v10, off, s[24:27], 0 offset:400 ; 4-byte Folded Reload
	buffer_load_dword v11, off, s[24:27], 0 offset:404 ; 4-byte Folded Reload
	;; [unrolled: 1-line block ×4, first 2 shown]
	v_fma_f64 v[4:5], v[40:41], v[40:41], v[4:5]
	v_fma_f64 v[4:5], v[50:51], v[50:51], v[4:5]
	v_fma_f64 v[116:117], v[248:249], v[4:5], v[102:103]
	v_mul_f64 v[4:5], v[60:61], v[36:37]
	v_fma_f64 v[4:5], v[40:41], v[26:27], v[4:5]
	v_fma_f64 v[4:5], v[50:51], v[32:33], v[4:5]
	v_fma_f64 v[110:111], v[248:249], v[4:5], v[104:105]
	v_mul_f64 v[4:5], v[60:61], v[16:17]
	;; [unrolled: 4-line block ×4, first 2 shown]
	buffer_load_dword v60, off, s[24:27], 0 offset:376 ; 4-byte Folded Reload
	buffer_load_dword v61, off, s[24:27], 0 offset:380 ; 4-byte Folded Reload
	v_fma_f64 v[4:5], v[40:41], v[12:13], v[4:5]
	buffer_load_dword v40, off, s[24:27], 0 offset:352 ; 4-byte Folded Reload
	buffer_load_dword v41, off, s[24:27], 0 offset:356 ; 4-byte Folded Reload
	v_fma_f64 v[4:5], v[50:51], v[250:251], v[4:5]
	;; [unrolled: 3-line block ×3, first 2 shown]
	v_mul_f64 v[4:5], v[36:37], v[36:37]
	v_fma_f64 v[4:5], v[26:27], v[26:27], v[4:5]
	v_fma_f64 v[4:5], v[32:33], v[32:33], v[4:5]
	v_fma_f64 v[102:103], v[248:249], v[4:5], v[92:93]
	v_mul_f64 v[4:5], v[36:37], v[16:17]
	v_fma_f64 v[4:5], v[26:27], v[0:1], v[4:5]
	v_fma_f64 v[4:5], v[32:33], v[8:9], v[4:5]
	v_fma_f64 v[92:93], v[248:249], v[4:5], v[96:97]
	;; [unrolled: 4-line block ×3, first 2 shown]
	v_mul_f64 v[4:5], v[36:37], v[56:57]
	buffer_load_dword v36, off, s[24:27], 0 offset:432 ; 4-byte Folded Reload
	buffer_load_dword v37, off, s[24:27], 0 offset:436 ; 4-byte Folded Reload
	v_fma_f64 v[4:5], v[26:27], v[12:13], v[4:5]
	v_fma_f64 v[4:5], v[32:33], v[250:251], v[4:5]
	buffer_load_dword v32, off, s[24:27], 0 offset:416 ; 4-byte Folded Reload
	buffer_load_dword v33, off, s[24:27], 0 offset:420 ; 4-byte Folded Reload
	v_fma_f64 v[54:55], v[248:249], v[4:5], v[72:73]
	v_mul_f64 v[4:5], v[16:17], v[16:17]
	buffer_load_dword v72, off, s[24:27], 0 offset:512 ; 4-byte Folded Reload
	buffer_load_dword v73, off, s[24:27], 0 offset:516 ; 4-byte Folded Reload
	v_fma_f64 v[4:5], v[0:1], v[0:1], v[4:5]
	v_fma_f64 v[4:5], v[8:9], v[8:9], v[4:5]
	;; [unrolled: 1-line block ×3, first 2 shown]
	v_mul_f64 v[4:5], v[16:17], v[2:3]
	v_fma_f64 v[4:5], v[0:1], v[252:253], v[4:5]
	v_fma_f64 v[4:5], v[8:9], v[254:255], v[4:5]
	;; [unrolled: 1-line block ×3, first 2 shown]
	v_mul_f64 v[4:5], v[16:17], v[56:57]
	v_fma_f64 v[0:1], v[0:1], v[12:13], v[4:5]
	v_fma_f64 v[0:1], v[8:9], v[250:251], v[0:1]
	buffer_load_dword v8, off, s[24:27], 0 offset:392 ; 4-byte Folded Reload
	buffer_load_dword v9, off, s[24:27], 0 offset:396 ; 4-byte Folded Reload
	v_fma_f64 v[26:27], v[248:249], v[0:1], v[66:67]
	v_mul_f64 v[0:1], v[2:3], v[2:3]
	buffer_load_dword v66, off, s[24:27], 0 offset:448 ; 4-byte Folded Reload
	buffer_load_dword v67, off, s[24:27], 0 offset:452 ; 4-byte Folded Reload
	v_fma_f64 v[0:1], v[252:253], v[252:253], v[0:1]
	v_fma_f64 v[0:1], v[254:255], v[254:255], v[0:1]
	;; [unrolled: 1-line block ×3, first 2 shown]
	v_mul_f64 v[0:1], v[2:3], v[56:57]
	buffer_load_dword v68, off, s[24:27], 0 offset:456 ; 4-byte Folded Reload
	buffer_load_dword v69, off, s[24:27], 0 offset:460 ; 4-byte Folded Reload
	v_fma_f64 v[0:1], v[252:253], v[12:13], v[0:1]
	v_fma_f64 v[0:1], v[254:255], v[250:251], v[0:1]
	;; [unrolled: 1-line block ×3, first 2 shown]
	v_mul_f64 v[0:1], v[56:57], v[56:57]
	buffer_load_dword v52, off, s[24:27], 0 offset:480 ; 4-byte Folded Reload
	buffer_load_dword v53, off, s[24:27], 0 offset:484 ; 4-byte Folded Reload
	buffer_load_dword v56, off, s[24:27], 0 offset:496 ; 4-byte Folded Reload
	buffer_load_dword v57, off, s[24:27], 0 offset:500 ; 4-byte Folded Reload
	v_fma_f64 v[0:1], v[12:13], v[12:13], v[0:1]
	buffer_load_dword v12, off, s[24:27], 0 offset:408 ; 4-byte Folded Reload
	buffer_load_dword v13, off, s[24:27], 0 offset:412 ; 4-byte Folded Reload
	v_fma_f64 v[0:1], v[250:251], v[250:251], v[0:1]
	v_fma_f64 v[96:97], v[248:249], v[0:1], v[42:43]
	buffer_load_dword v42, off, s[24:27], 0 offset:360 ; 4-byte Folded Reload
	buffer_load_dword v43, off, s[24:27], 0 offset:364 ; 4-byte Folded Reload
	s_cbranch_vccz .LBB1_4
; %bb.5:                                ;   in Loop: Header=BB1_3 Depth=2
	buffer_load_dword v86, off, s[24:27], 0 offset:32 ; 4-byte Folded Reload
	buffer_load_dword v87, off, s[24:27], 0 offset:36 ; 4-byte Folded Reload
	;; [unrolled: 1-line block ×10, first 2 shown]
	buffer_load_dword v80, off, s[24:27], 0 ; 4-byte Folded Reload
	buffer_load_dword v81, off, s[24:27], 0 offset:4 ; 4-byte Folded Reload
	s_mov_b64 s[0:1], 0
	s_and_b64 vcc, exec, s[16:17]
	s_cbranch_vccnz .LBB1_7
; %bb.6:                                ;   in Loop: Header=BB1_3 Depth=2
	s_mov_b64 s[14:15], s[8:9]
	s_branch .LBB1_3
.LBB1_7:                                ;   in Loop: Header=BB1_2 Depth=1
	s_and_b64 vcc, exec, s[12:13]
	s_cbranch_vccnz .LBB1_9
; %bb.8:                                ;   in Loop: Header=BB1_2 Depth=1
	s_mov_b64 s[10:11], s[8:9]
	s_branch .LBB1_2
.LBB1_9:
	v_add_f64 v[0:1], v[244:245], 0
	v_add_f64 v[2:3], v[242:243], 0
	;; [unrolled: 1-line block ×4, first 2 shown]
	s_waitcnt vmcnt(24)
	v_add_f64 v[8:9], v[234:235], 0
	v_add_f64 v[10:11], v[230:231], 0
	s_waitcnt vmcnt(14)
	v_add_f64 v[12:13], v[224:225], 0
	v_add_f64 v[14:15], v[218:219], 0
	v_add_f64 v[0:1], v[242:243], v[0:1]
	s_waitcnt vmcnt(10)
	v_add_f64 v[2:3], v[86:87], v[2:3]
	s_waitcnt vmcnt(8)
	v_add_f64 v[4:5], v[156:157], v[4:5]
	v_add_f64 v[6:7], v[228:229], v[6:7]
	v_add_f64 v[8:9], v[222:223], v[8:9]
	v_add_f64 v[10:11], v[216:217], v[10:11]
	v_add_f64 v[12:13], v[210:211], v[12:13]
	v_add_f64 v[16:17], v[212:213], 0
	v_add_f64 v[0:1], v[240:241], v[0:1]
	v_add_f64 v[2:3], v[156:157], v[2:3]
	s_waitcnt vmcnt(6)
	v_add_f64 v[4:5], v[88:89], v[4:5]
	s_waitcnt vmcnt(4)
	v_add_f64 v[6:7], v[152:153], v[6:7]
	v_add_f64 v[8:9], v[214:215], v[8:9]
	v_add_f64 v[10:11], v[206:207], v[10:11]
	v_add_f64 v[14:15], v[202:203], v[14:15]
	v_add_f64 v[12:13], v[198:199], v[12:13]
	;; [unrolled: 11-line block ×3, first 2 shown]
	v_add_f64 v[2:3], v[222:223], v[2:3]
	v_add_f64 v[4:5], v[214:215], v[4:5]
	;; [unrolled: 1-line block ×119, first 2 shown]
	buffer_load_dword v4, off, s[24:27], 0 offset:632 ; 4-byte Folded Reload
	buffer_load_dword v5, off, s[24:27], 0 offset:636 ; 4-byte Folded Reload
	v_add_f64 v[6:7], v[26:27], v[6:7]
	v_add_f64 v[2:3], v[24:25], v[6:7]
	;; [unrolled: 1-line block ×4, first 2 shown]
	v_mov_b32_e32 v3, s3
	s_waitcnt vmcnt(1)
	v_add_co_u32_e32 v2, vcc, s2, v4
	s_waitcnt vmcnt(0)
	v_addc_co_u32_e32 v3, vcc, v3, v5, vcc
	global_store_dwordx2 v[2:3], v[0:1], off
.LBB1_10:
	s_endpgm
	.section	.rodata,"a",@progbits
	.p2align	6, 0x0
	.amdhsa_kernel _ZN8rajaperf17lambda_hip_forallILm256EZNS_4apps6EDGE3D17runHipVariantImplILm256EEEvNS_9VariantIDEEUllE_EEvllT0_
		.amdhsa_group_segment_fixed_size 0
		.amdhsa_private_segment_fixed_size 644
		.amdhsa_kernarg_size 216
		.amdhsa_user_sgpr_count 6
		.amdhsa_user_sgpr_private_segment_buffer 1
		.amdhsa_user_sgpr_dispatch_ptr 0
		.amdhsa_user_sgpr_queue_ptr 0
		.amdhsa_user_sgpr_kernarg_segment_ptr 1
		.amdhsa_user_sgpr_dispatch_id 0
		.amdhsa_user_sgpr_flat_scratch_init 0
		.amdhsa_user_sgpr_private_segment_size 0
		.amdhsa_uses_dynamic_stack 0
		.amdhsa_system_sgpr_private_segment_wavefront_offset 1
		.amdhsa_system_sgpr_workgroup_id_x 1
		.amdhsa_system_sgpr_workgroup_id_y 0
		.amdhsa_system_sgpr_workgroup_id_z 0
		.amdhsa_system_sgpr_workgroup_info 0
		.amdhsa_system_vgpr_workitem_id 0
		.amdhsa_next_free_vgpr 256
		.amdhsa_next_free_sgpr 52
		.amdhsa_reserve_vcc 1
		.amdhsa_reserve_flat_scratch 0
		.amdhsa_float_round_mode_32 0
		.amdhsa_float_round_mode_16_64 0
		.amdhsa_float_denorm_mode_32 3
		.amdhsa_float_denorm_mode_16_64 3
		.amdhsa_dx10_clamp 1
		.amdhsa_ieee_mode 1
		.amdhsa_fp16_overflow 0
		.amdhsa_exception_fp_ieee_invalid_op 0
		.amdhsa_exception_fp_denorm_src 0
		.amdhsa_exception_fp_ieee_div_zero 0
		.amdhsa_exception_fp_ieee_overflow 0
		.amdhsa_exception_fp_ieee_underflow 0
		.amdhsa_exception_fp_ieee_inexact 0
		.amdhsa_exception_int_div_zero 0
	.end_amdhsa_kernel
	.section	.text._ZN8rajaperf17lambda_hip_forallILm256EZNS_4apps6EDGE3D17runHipVariantImplILm256EEEvNS_9VariantIDEEUllE_EEvllT0_,"axG",@progbits,_ZN8rajaperf17lambda_hip_forallILm256EZNS_4apps6EDGE3D17runHipVariantImplILm256EEEvNS_9VariantIDEEUllE_EEvllT0_,comdat
.Lfunc_end1:
	.size	_ZN8rajaperf17lambda_hip_forallILm256EZNS_4apps6EDGE3D17runHipVariantImplILm256EEEvNS_9VariantIDEEUllE_EEvllT0_, .Lfunc_end1-_ZN8rajaperf17lambda_hip_forallILm256EZNS_4apps6EDGE3D17runHipVariantImplILm256EEEvNS_9VariantIDEEUllE_EEvllT0_
                                        ; -- End function
	.set _ZN8rajaperf17lambda_hip_forallILm256EZNS_4apps6EDGE3D17runHipVariantImplILm256EEEvNS_9VariantIDEEUllE_EEvllT0_.num_vgpr, 256
	.set _ZN8rajaperf17lambda_hip_forallILm256EZNS_4apps6EDGE3D17runHipVariantImplILm256EEEvNS_9VariantIDEEUllE_EEvllT0_.num_agpr, 0
	.set _ZN8rajaperf17lambda_hip_forallILm256EZNS_4apps6EDGE3D17runHipVariantImplILm256EEEvNS_9VariantIDEEUllE_EEvllT0_.numbered_sgpr, 52
	.set _ZN8rajaperf17lambda_hip_forallILm256EZNS_4apps6EDGE3D17runHipVariantImplILm256EEEvNS_9VariantIDEEUllE_EEvllT0_.num_named_barrier, 0
	.set _ZN8rajaperf17lambda_hip_forallILm256EZNS_4apps6EDGE3D17runHipVariantImplILm256EEEvNS_9VariantIDEEUllE_EEvllT0_.private_seg_size, 644
	.set _ZN8rajaperf17lambda_hip_forallILm256EZNS_4apps6EDGE3D17runHipVariantImplILm256EEEvNS_9VariantIDEEUllE_EEvllT0_.uses_vcc, 1
	.set _ZN8rajaperf17lambda_hip_forallILm256EZNS_4apps6EDGE3D17runHipVariantImplILm256EEEvNS_9VariantIDEEUllE_EEvllT0_.uses_flat_scratch, 0
	.set _ZN8rajaperf17lambda_hip_forallILm256EZNS_4apps6EDGE3D17runHipVariantImplILm256EEEvNS_9VariantIDEEUllE_EEvllT0_.has_dyn_sized_stack, 0
	.set _ZN8rajaperf17lambda_hip_forallILm256EZNS_4apps6EDGE3D17runHipVariantImplILm256EEEvNS_9VariantIDEEUllE_EEvllT0_.has_recursion, 0
	.set _ZN8rajaperf17lambda_hip_forallILm256EZNS_4apps6EDGE3D17runHipVariantImplILm256EEEvNS_9VariantIDEEUllE_EEvllT0_.has_indirect_call, 0
	.section	.AMDGPU.csdata,"",@progbits
; Kernel info:
; codeLenInByte = 13652
; TotalNumSgprs: 56
; NumVgprs: 256
; ScratchSize: 644
; MemoryBound: 0
; FloatMode: 240
; IeeeMode: 1
; LDSByteSize: 0 bytes/workgroup (compile time only)
; SGPRBlocks: 6
; VGPRBlocks: 63
; NumSGPRsForWavesPerEU: 56
; NumVGPRsForWavesPerEU: 256
; Occupancy: 1
; WaveLimiterHint : 0
; COMPUTE_PGM_RSRC2:SCRATCH_EN: 1
; COMPUTE_PGM_RSRC2:USER_SGPR: 6
; COMPUTE_PGM_RSRC2:TRAP_HANDLER: 0
; COMPUTE_PGM_RSRC2:TGID_X_EN: 1
; COMPUTE_PGM_RSRC2:TGID_Y_EN: 0
; COMPUTE_PGM_RSRC2:TGID_Z_EN: 0
; COMPUTE_PGM_RSRC2:TIDIG_COMP_CNT: 0
	.section	.text._ZN4RAJA6policy3hip4impl18forallp_hip_kernelINS1_8hip_execINS_17iteration_mapping6DirectENS_3hip11IndexGlobalILNS_9named_dimE0ELi256ELi0EEENS7_40AvoidDeviceMaxThreadOccupancyConcretizerINS7_34FractionOffsetOccupancyConcretizerINS_8FractionImLm1ELm1EEELln1EEEEELb1EEENS_9Iterators16numeric_iteratorIllPlEEZN8rajaperf4apps6EDGE3D17runHipVariantImplILm256EEEvNSM_9VariantIDEEUllE0_lNS_4expt15ForallParamPackIJEEES6_SA_TnNSt9enable_ifIXaasr3std10is_base_ofINS5_10DirectBaseET4_EE5valuegtsrT5_10block_sizeLi0EEmE4typeELm256EEEvT1_T0_T2_T3_,"axG",@progbits,_ZN4RAJA6policy3hip4impl18forallp_hip_kernelINS1_8hip_execINS_17iteration_mapping6DirectENS_3hip11IndexGlobalILNS_9named_dimE0ELi256ELi0EEENS7_40AvoidDeviceMaxThreadOccupancyConcretizerINS7_34FractionOffsetOccupancyConcretizerINS_8FractionImLm1ELm1EEELln1EEEEELb1EEENS_9Iterators16numeric_iteratorIllPlEEZN8rajaperf4apps6EDGE3D17runHipVariantImplILm256EEEvNSM_9VariantIDEEUllE0_lNS_4expt15ForallParamPackIJEEES6_SA_TnNSt9enable_ifIXaasr3std10is_base_ofINS5_10DirectBaseET4_EE5valuegtsrT5_10block_sizeLi0EEmE4typeELm256EEEvT1_T0_T2_T3_,comdat
	.protected	_ZN4RAJA6policy3hip4impl18forallp_hip_kernelINS1_8hip_execINS_17iteration_mapping6DirectENS_3hip11IndexGlobalILNS_9named_dimE0ELi256ELi0EEENS7_40AvoidDeviceMaxThreadOccupancyConcretizerINS7_34FractionOffsetOccupancyConcretizerINS_8FractionImLm1ELm1EEELln1EEEEELb1EEENS_9Iterators16numeric_iteratorIllPlEEZN8rajaperf4apps6EDGE3D17runHipVariantImplILm256EEEvNSM_9VariantIDEEUllE0_lNS_4expt15ForallParamPackIJEEES6_SA_TnNSt9enable_ifIXaasr3std10is_base_ofINS5_10DirectBaseET4_EE5valuegtsrT5_10block_sizeLi0EEmE4typeELm256EEEvT1_T0_T2_T3_ ; -- Begin function _ZN4RAJA6policy3hip4impl18forallp_hip_kernelINS1_8hip_execINS_17iteration_mapping6DirectENS_3hip11IndexGlobalILNS_9named_dimE0ELi256ELi0EEENS7_40AvoidDeviceMaxThreadOccupancyConcretizerINS7_34FractionOffsetOccupancyConcretizerINS_8FractionImLm1ELm1EEELln1EEEEELb1EEENS_9Iterators16numeric_iteratorIllPlEEZN8rajaperf4apps6EDGE3D17runHipVariantImplILm256EEEvNSM_9VariantIDEEUllE0_lNS_4expt15ForallParamPackIJEEES6_SA_TnNSt9enable_ifIXaasr3std10is_base_ofINS5_10DirectBaseET4_EE5valuegtsrT5_10block_sizeLi0EEmE4typeELm256EEEvT1_T0_T2_T3_
	.globl	_ZN4RAJA6policy3hip4impl18forallp_hip_kernelINS1_8hip_execINS_17iteration_mapping6DirectENS_3hip11IndexGlobalILNS_9named_dimE0ELi256ELi0EEENS7_40AvoidDeviceMaxThreadOccupancyConcretizerINS7_34FractionOffsetOccupancyConcretizerINS_8FractionImLm1ELm1EEELln1EEEEELb1EEENS_9Iterators16numeric_iteratorIllPlEEZN8rajaperf4apps6EDGE3D17runHipVariantImplILm256EEEvNSM_9VariantIDEEUllE0_lNS_4expt15ForallParamPackIJEEES6_SA_TnNSt9enable_ifIXaasr3std10is_base_ofINS5_10DirectBaseET4_EE5valuegtsrT5_10block_sizeLi0EEmE4typeELm256EEEvT1_T0_T2_T3_
	.p2align	8
	.type	_ZN4RAJA6policy3hip4impl18forallp_hip_kernelINS1_8hip_execINS_17iteration_mapping6DirectENS_3hip11IndexGlobalILNS_9named_dimE0ELi256ELi0EEENS7_40AvoidDeviceMaxThreadOccupancyConcretizerINS7_34FractionOffsetOccupancyConcretizerINS_8FractionImLm1ELm1EEELln1EEEEELb1EEENS_9Iterators16numeric_iteratorIllPlEEZN8rajaperf4apps6EDGE3D17runHipVariantImplILm256EEEvNSM_9VariantIDEEUllE0_lNS_4expt15ForallParamPackIJEEES6_SA_TnNSt9enable_ifIXaasr3std10is_base_ofINS5_10DirectBaseET4_EE5valuegtsrT5_10block_sizeLi0EEmE4typeELm256EEEvT1_T0_T2_T3_,@function
_ZN4RAJA6policy3hip4impl18forallp_hip_kernelINS1_8hip_execINS_17iteration_mapping6DirectENS_3hip11IndexGlobalILNS_9named_dimE0ELi256ELi0EEENS7_40AvoidDeviceMaxThreadOccupancyConcretizerINS7_34FractionOffsetOccupancyConcretizerINS_8FractionImLm1ELm1EEELln1EEEEELb1EEENS_9Iterators16numeric_iteratorIllPlEEZN8rajaperf4apps6EDGE3D17runHipVariantImplILm256EEEvNSM_9VariantIDEEUllE0_lNS_4expt15ForallParamPackIJEEES6_SA_TnNSt9enable_ifIXaasr3std10is_base_ofINS5_10DirectBaseET4_EE5valuegtsrT5_10block_sizeLi0EEmE4typeELm256EEEvT1_T0_T2_T3_: ; @_ZN4RAJA6policy3hip4impl18forallp_hip_kernelINS1_8hip_execINS_17iteration_mapping6DirectENS_3hip11IndexGlobalILNS_9named_dimE0ELi256ELi0EEENS7_40AvoidDeviceMaxThreadOccupancyConcretizerINS7_34FractionOffsetOccupancyConcretizerINS_8FractionImLm1ELm1EEELln1EEEEELb1EEENS_9Iterators16numeric_iteratorIllPlEEZN8rajaperf4apps6EDGE3D17runHipVariantImplILm256EEEvNSM_9VariantIDEEUllE0_lNS_4expt15ForallParamPackIJEEES6_SA_TnNSt9enable_ifIXaasr3std10is_base_ofINS5_10DirectBaseET4_EE5valuegtsrT5_10block_sizeLi0EEmE4typeELm256EEEvT1_T0_T2_T3_
; %bb.0:
	s_mov_b64 s[30:31], s[2:3]
	s_mov_b64 s[28:29], s[0:1]
	s_load_dwordx2 s[0:1], s[4:5], 0xd0
	s_add_u32 s28, s28, s7
	s_mov_b32 s7, 0
	s_addc_u32 s29, s29, 0
	s_lshl_b64 s[2:3], s[6:7], 8
	v_or_b32_e32 v0, s2, v0
	v_mov_b32_e32 v1, s3
	s_waitcnt lgkmcnt(0)
	v_cmp_gt_i64_e32 vcc, s[0:1], v[0:1]
	s_and_saveexec_b64 s[0:1], vcc
	s_cbranch_execz .LBB2_10
; %bb.1:
	s_load_dwordx4 s[24:27], s[4:5], 0xc0
	s_load_dwordx16 s[8:23], s[4:5], 0x0
	s_load_dwordx16 s[36:51], s[4:5], 0x40
	s_mov_b32 s2, 0x74df99c7
	s_mov_b32 s3, 0x3fcb0cb1
	s_waitcnt lgkmcnt(0)
	v_mov_b32_e32 v2, s27
	v_add_co_u32_e32 v0, vcc, s26, v0
	v_addc_co_u32_e32 v1, vcc, v1, v2, vcc
	v_lshlrev_b64 v[61:62], 3, v[0:1]
	v_mov_b32_e32 v1, s9
	v_add_co_u32_e32 v0, vcc, s8, v61
	v_addc_co_u32_e32 v1, vcc, v1, v62, vcc
	v_mov_b32_e32 v3, s11
	v_add_co_u32_e32 v2, vcc, s10, v61
	v_addc_co_u32_e32 v3, vcc, v3, v62, vcc
	;; [unrolled: 3-line block ×14, first 2 shown]
	s_load_dwordx16 s[8:23], s[4:5], 0x80
	v_mov_b32_e32 v29, s49
	v_add_co_u32_e32 v28, vcc, s48, v61
	v_addc_co_u32_e32 v29, vcc, v29, v62, vcc
	v_mov_b32_e32 v31, s51
	v_add_co_u32_e32 v30, vcc, s50, v61
	v_addc_co_u32_e32 v31, vcc, v31, v62, vcc
	global_load_dwordx2 v[0:1], v[0:1], off
	s_waitcnt lgkmcnt(0)
	v_mov_b32_e32 v41, s17
	global_load_dwordx2 v[2:3], v[2:3], off
	v_mov_b32_e32 v43, s19
	global_load_dwordx2 v[4:5], v[4:5], off
	;; [unrolled: 2-line block ×4, first 2 shown]
	s_mov_b32 s4, 0x4ad4b81f
	global_load_dwordx2 v[10:11], v[10:11], off
	s_mov_b32 s6, 0xa2c8198e
	global_load_dwordx2 v[12:13], v[12:13], off
	v_mov_b32_e32 v96, 0
	global_load_dwordx2 v[14:15], v[14:15], off
	s_nop 0
	global_load_dwordx2 v[32:33], v[18:19], off
	global_load_dwordx2 v[34:35], v[26:27], off
	;; [unrolled: 1-line block ×4, first 2 shown]
	s_nop 0
	global_load_dwordx2 v[16:17], v[28:29], off
	global_load_dwordx2 v[18:19], v[22:23], off
	;; [unrolled: 1-line block ×4, first 2 shown]
	v_mov_b32_e32 v23, s9
	v_add_co_u32_e32 v22, vcc, s8, v61
	v_addc_co_u32_e32 v23, vcc, v23, v62, vcc
	v_mov_b32_e32 v25, s11
	v_add_co_u32_e32 v24, vcc, s10, v61
	v_addc_co_u32_e32 v25, vcc, v25, v62, vcc
	v_mov_b32_e32 v29, s13
	v_add_co_u32_e32 v28, vcc, s12, v61
	v_addc_co_u32_e32 v29, vcc, v29, v62, vcc
	v_mov_b32_e32 v31, s15
	v_add_co_u32_e32 v30, vcc, s14, v61
	v_addc_co_u32_e32 v31, vcc, v31, v62, vcc
	v_add_co_u32_e32 v40, vcc, s16, v61
	v_addc_co_u32_e32 v41, vcc, v41, v62, vcc
	v_add_co_u32_e32 v42, vcc, s18, v61
	v_addc_co_u32_e32 v43, vcc, v43, v62, vcc
	;; [unrolled: 2-line block ×3, first 2 shown]
	global_load_dwordx2 v[46:47], v[24:25], off
	global_load_dwordx2 v[48:49], v[42:43], off
	;; [unrolled: 1-line block ×7, first 2 shown]
	v_add_co_u32_e32 v22, vcc, s22, v61
	buffer_store_dword v61, off, s[28:31], 0 offset:632 ; 4-byte Folded Spill
	s_nop 0
	buffer_store_dword v62, off, s[28:31], 0 offset:636 ; 4-byte Folded Spill
	v_mov_b32_e32 v28, 0
	v_mov_b32_e32 v78, 0
	;; [unrolled: 1-line block ×29, first 2 shown]
	s_waitcnt vmcnt(23)
	v_add_f64 v[30:31], v[2:3], -v[0:1]
	v_mov_b32_e32 v168, 0
	s_waitcnt vmcnt(22)
	v_add_f64 v[40:41], v[4:5], -v[2:3]
	v_mov_b32_e32 v150, 0
	s_waitcnt vmcnt(21)
	v_add_f64 v[44:45], v[6:7], -v[0:1]
	v_add_f64 v[42:43], v[4:5], -v[6:7]
	v_mov_b32_e32 v236, 0
	v_mov_b32_e32 v130, 0
	s_waitcnt vmcnt(19)
	v_add_f64 v[24:25], v[10:11], -v[2:3]
	v_mov_b32_e32 v142, 0
	s_waitcnt vmcnt(18)
	v_add_f64 v[2:3], v[12:13], -v[4:5]
	v_mov_b32_e32 v158, 0
	v_mov_b32_e32 v166, 0
	;; [unrolled: 1-line block ×3, first 2 shown]
	s_waitcnt vmcnt(9)
	v_add_f64 v[66:67], v[26:27], -v[20:21]
	v_add_f64 v[68:69], v[16:17], -v[26:27]
	v_mov_b32_e32 v182, 0
	v_mov_b32_e32 v192, 0
	;; [unrolled: 1-line block ×27, first 2 shown]
	s_waitcnt vmcnt(6)
	v_add_f64 v[70:71], v[46:47], -v[50:51]
	v_mov_b32_e32 v204, 0
	v_mov_b32_e32 v212, 0
	;; [unrolled: 1-line block ×5, first 2 shown]
	v_addc_co_u32_e32 v23, vcc, v60, v62, vcc
	global_load_dwordx2 v[22:23], v[22:23], off
	s_nop 0
	buffer_store_dword v24, off, s[28:31], 0 offset:536 ; 4-byte Folded Spill
	s_nop 0
	buffer_store_dword v25, off, s[28:31], 0 offset:540 ; 4-byte Folded Spill
	buffer_store_dword v2, off, s[28:31], 0 offset:544 ; 4-byte Folded Spill
	s_nop 0
	buffer_store_dword v3, off, s[28:31], 0 offset:548 ; 4-byte Folded Spill
	v_add_f64 v[2:3], v[8:9], -v[0:1]
	v_add_f64 v[0:1], v[14:15], -v[6:7]
	buffer_store_dword v2, off, s[28:31], 0 offset:552 ; 4-byte Folded Spill
	s_nop 0
	buffer_store_dword v3, off, s[28:31], 0 offset:556 ; 4-byte Folded Spill
	buffer_store_dword v0, off, s[28:31], 0 offset:560 ; 4-byte Folded Spill
	s_nop 0
	buffer_store_dword v1, off, s[28:31], 0 offset:564 ; 4-byte Folded Spill
	v_add_f64 v[0:1], v[34:35], -v[32:33]
	buffer_store_dword v0, off, s[28:31], 0 offset:568 ; 4-byte Folded Spill
	s_nop 0
	buffer_store_dword v1, off, s[28:31], 0 offset:572 ; 4-byte Folded Spill
	v_add_f64 v[0:1], v[16:17], -v[38:39]
	;; [unrolled: 4-line block ×5, first 2 shown]
	buffer_store_dword v0, off, s[28:31], 0 offset:600 ; 4-byte Folded Spill
	s_nop 0
	buffer_store_dword v1, off, s[28:31], 0 offset:604 ; 4-byte Folded Spill
	s_waitcnt vmcnt(23)
	v_add_f64 v[0:1], v[54:55], -v[52:53]
	buffer_store_dword v0, off, s[28:31], 0 offset:608 ; 4-byte Folded Spill
	s_nop 0
	buffer_store_dword v1, off, s[28:31], 0 offset:612 ; 4-byte Folded Spill
	s_waitcnt vmcnt(23)
	v_add_f64 v[0:1], v[58:59], -v[50:51]
	buffer_store_dword v0, off, s[28:31], 0 offset:616 ; 4-byte Folded Spill
	s_nop 0
	buffer_store_dword v1, off, s[28:31], 0 offset:620 ; 4-byte Folded Spill
	v_add_f64 v[46:47], v[52:53], -v[46:47]
	v_add_f64 v[52:53], v[52:53], -v[56:57]
	;; [unrolled: 1-line block ×3, first 2 shown]
	v_mov_b32_e32 v24, 0
	s_waitcnt vmcnt(22)
	v_add_f64 v[0:1], v[22:23], -v[56:57]
	v_add_f64 v[56:57], v[48:49], -v[58:59]
	;; [unrolled: 1-line block ×4, first 2 shown]
	v_mov_b32_e32 v26, 0
	v_mov_b32_e32 v54, 0
	;; [unrolled: 1-line block ×7, first 2 shown]
	v_add_f64 v[60:61], v[10:11], -v[8:9]
	v_add_f64 v[62:63], v[14:15], -v[8:9]
	;; [unrolled: 1-line block ×11, first 2 shown]
	s_mov_b64 s[0:1], -1
	s_mov_b32 s5, 0x358dee7a
	s_mov_b32 s7, 0x3fe93cd3
	v_mov_b32_e32 v97, 0
	v_mov_b32_e32 v25, 0
	;; [unrolled: 1-line block ×78, first 2 shown]
	s_mov_b64 s[8:9], s[2:3]
	buffer_store_dword v0, off, s[28:31], 0 offset:624 ; 4-byte Folded Spill
	s_nop 0
	buffer_store_dword v1, off, s[28:31], 0 offset:628 ; 4-byte Folded Spill
	buffer_store_dword v30, off, s[28:31], 0 offset:344 ; 4-byte Folded Spill
	s_nop 0
	buffer_store_dword v31, off, s[28:31], 0 offset:348 ; 4-byte Folded Spill
	;; [unrolled: 3-line block ×25, first 2 shown]
.LBB2_2:                                ; =>This Loop Header: Depth=1
                                        ;     Child Loop BB2_3 Depth 2
                                        ;       Child Loop BB2_4 Depth 3
	v_add_f64 v[74:75], -s[8:9], 1.0
	s_xor_b64 s[10:11], s[0:1], -1
	s_mov_b64 s[0:1], -1
	s_mov_b64 s[12:13], s[2:3]
.LBB2_3:                                ;   Parent Loop BB2_2 Depth=1
                                        ; =>  This Loop Header: Depth=2
                                        ;       Child Loop BB2_4 Depth 3
	s_waitcnt vmcnt(7)
	buffer_store_dword v88, off, s[28:31], 0 offset:40 ; 4-byte Folded Spill
	s_waitcnt vmcnt(7)
	buffer_store_dword v89, off, s[28:31], 0 offset:44 ; 4-byte Folded Spill
	buffer_store_dword v86, off, s[28:31], 0 offset:32 ; 4-byte Folded Spill
	s_nop 0
	buffer_store_dword v87, off, s[28:31], 0 offset:36 ; 4-byte Folded Spill
	buffer_store_dword v156, off, s[28:31], 0 offset:24 ; 4-byte Folded Spill
	s_nop 0
	buffer_store_dword v157, off, s[28:31], 0 offset:28 ; 4-byte Folded Spill
	s_waitcnt vmcnt(11)
	buffer_store_dword v152, off, s[28:31], 0 offset:16 ; 4-byte Folded Spill
	s_waitcnt vmcnt(11)
	;; [unrolled: 2-line block ×5, first 2 shown]
	buffer_store_dword v80, off, s[28:31], 0 ; 4-byte Folded Spill
	s_waitcnt vmcnt(11)
	buffer_store_dword v81, off, s[28:31], 0 offset:4 ; 4-byte Folded Spill
	buffer_load_dword v0, off, s[28:31], 0 offset:536 ; 4-byte Folded Reload
	buffer_load_dword v1, off, s[28:31], 0 offset:540 ; 4-byte Folded Reload
	;; [unrolled: 1-line block ×4, first 2 shown]
	v_add_f64 v[76:77], -s[12:13], 1.0
	buffer_load_dword v4, off, s[28:31], 0 offset:600 ; 4-byte Folded Reload
	buffer_load_dword v5, off, s[28:31], 0 offset:604 ; 4-byte Folded Reload
	s_mov_b64 s[18:19], -1
	s_xor_b64 s[14:15], s[0:1], -1
	s_mov_b64 s[16:17], s[2:3]
	v_mul_f64 v[6:7], s[8:9], v[76:77]
	v_mul_f64 v[14:15], v[74:75], v[76:77]
	s_waitcnt vmcnt(4)
	v_mul_f64 v[0:1], v[0:1], v[6:7]
	s_waitcnt vmcnt(2)
	v_mul_f64 v[2:3], v[2:3], v[6:7]
	buffer_store_dword v6, off, s[28:31], 0 offset:320 ; 4-byte Folded Spill
	s_nop 0
	buffer_store_dword v7, off, s[28:31], 0 offset:324 ; 4-byte Folded Spill
	s_waitcnt vmcnt(2)
	v_mul_f64 v[4:5], v[4:5], v[6:7]
	v_mov_b32_e32 v6, s12
	v_mov_b32_e32 v7, s13
	v_mul_f64 v[16:17], s[8:9], v[6:7]
	buffer_load_dword v6, off, s[28:31], 0 offset:552 ; 4-byte Folded Reload
	buffer_load_dword v7, off, s[28:31], 0 offset:556 ; 4-byte Folded Reload
	s_waitcnt vmcnt(0)
	v_fma_f64 v[0:1], v[6:7], v[14:15], v[0:1]
	buffer_load_dword v6, off, s[28:31], 0 offset:584 ; 4-byte Folded Reload
	buffer_load_dword v7, off, s[28:31], 0 offset:588 ; 4-byte Folded Reload
	s_waitcnt vmcnt(0)
	v_fma_f64 v[2:3], v[6:7], v[14:15], v[2:3]
	;; [unrolled: 4-line block ×3, first 2 shown]
	buffer_load_dword v6, off, s[28:31], 0 offset:544 ; 4-byte Folded Reload
	buffer_load_dword v7, off, s[28:31], 0 offset:548 ; 4-byte Folded Reload
	v_mul_f64 v[14:15], v[74:75], s[12:13]
	s_waitcnt vmcnt(0)
	v_fma_f64 v[0:1], v[6:7], v[16:17], v[0:1]
	buffer_load_dword v6, off, s[28:31], 0 offset:576 ; 4-byte Folded Reload
	buffer_load_dword v7, off, s[28:31], 0 offset:580 ; 4-byte Folded Reload
	s_waitcnt vmcnt(0)
	v_fma_f64 v[2:3], v[6:7], v[16:17], v[2:3]
	buffer_load_dword v6, off, s[28:31], 0 offset:608 ; 4-byte Folded Reload
	buffer_load_dword v7, off, s[28:31], 0 offset:612 ; 4-byte Folded Reload
	s_nop 0
	buffer_store_dword v16, off, s[28:31], 0 offset:328 ; 4-byte Folded Spill
	s_nop 0
	buffer_store_dword v17, off, s[28:31], 0 offset:332 ; 4-byte Folded Spill
	s_waitcnt vmcnt(2)
	v_fma_f64 v[4:5], v[6:7], v[16:17], v[4:5]
	buffer_load_dword v6, off, s[28:31], 0 offset:560 ; 4-byte Folded Reload
	buffer_load_dword v7, off, s[28:31], 0 offset:564 ; 4-byte Folded Reload
	s_waitcnt vmcnt(0)
	v_fma_f64 v[86:87], v[6:7], v[14:15], v[0:1]
	buffer_load_dword v0, off, s[28:31], 0 offset:592 ; 4-byte Folded Reload
	buffer_load_dword v1, off, s[28:31], 0 offset:596 ; 4-byte Folded Reload
	;; [unrolled: 4-line block ×3, first 2 shown]
	s_nop 0
	buffer_store_dword v14, off, s[28:31], 0 offset:336 ; 4-byte Folded Spill
	s_nop 0
	buffer_store_dword v15, off, s[28:31], 0 offset:340 ; 4-byte Folded Spill
	s_waitcnt vmcnt(2)
	v_fma_f64 v[90:91], v[0:1], v[14:15], v[4:5]
.LBB2_4:                                ;   Parent Loop BB2_2 Depth=1
                                        ;     Parent Loop BB2_3 Depth=2
                                        ; =>    This Inner Loop Header: Depth=3
	v_cndmask_b32_e64 v0, 0, 1, s[18:19]
	v_cmp_ne_u32_e64 s[0:1], 1, v0
	v_add_f64 v[0:1], -s[16:17], 1.0
	buffer_store_dword v148, off, s[28:31], 0 offset:312 ; 4-byte Folded Spill
	s_nop 0
	buffer_store_dword v149, off, s[28:31], 0 offset:316 ; 4-byte Folded Spill
	buffer_store_dword v114, off, s[28:31], 0 offset:304 ; 4-byte Folded Spill
	s_nop 0
	buffer_store_dword v115, off, s[28:31], 0 offset:308 ; 4-byte Folded Spill
	buffer_store_dword v108, off, s[28:31], 0 offset:296 ; 4-byte Folded Spill
	s_nop 0
	buffer_store_dword v109, off, s[28:31], 0 offset:300 ; 4-byte Folded Spill
	buffer_store_dword v106, off, s[28:31], 0 offset:288 ; 4-byte Folded Spill
	s_nop 0
	buffer_store_dword v107, off, s[28:31], 0 offset:292 ; 4-byte Folded Spill
	buffer_store_dword v98, off, s[28:31], 0 offset:280 ; 4-byte Folded Spill
	s_nop 0
	buffer_store_dword v99, off, s[28:31], 0 offset:284 ; 4-byte Folded Spill
	buffer_store_dword v94, off, s[28:31], 0 offset:272 ; 4-byte Folded Spill
	s_nop 0
	buffer_store_dword v95, off, s[28:31], 0 offset:276 ; 4-byte Folded Spill
	buffer_store_dword v82, off, s[28:31], 0 offset:264 ; 4-byte Folded Spill
	s_nop 0
	buffer_store_dword v83, off, s[28:31], 0 offset:268 ; 4-byte Folded Spill
	buffer_store_dword v168, off, s[28:31], 0 offset:256 ; 4-byte Folded Spill
	s_nop 0
	buffer_store_dword v169, off, s[28:31], 0 offset:260 ; 4-byte Folded Spill
	buffer_store_dword v146, off, s[28:31], 0 offset:248 ; 4-byte Folded Spill
	s_nop 0
	buffer_store_dword v147, off, s[28:31], 0 offset:252 ; 4-byte Folded Spill
	buffer_store_dword v138, off, s[28:31], 0 offset:240 ; 4-byte Folded Spill
	s_nop 0
	buffer_store_dword v139, off, s[28:31], 0 offset:244 ; 4-byte Folded Spill
	buffer_store_dword v132, off, s[28:31], 0 offset:232 ; 4-byte Folded Spill
	s_nop 0
	buffer_store_dword v133, off, s[28:31], 0 offset:236 ; 4-byte Folded Spill
	buffer_store_dword v124, off, s[28:31], 0 offset:224 ; 4-byte Folded Spill
	s_nop 0
	buffer_store_dword v125, off, s[28:31], 0 offset:228 ; 4-byte Folded Spill
	buffer_store_dword v118, off, s[28:31], 0 offset:216 ; 4-byte Folded Spill
	s_nop 0
	buffer_store_dword v119, off, s[28:31], 0 offset:220 ; 4-byte Folded Spill
	buffer_store_dword v144, off, s[28:31], 0 offset:208 ; 4-byte Folded Spill
	s_nop 0
	buffer_store_dword v145, off, s[28:31], 0 offset:212 ; 4-byte Folded Spill
	buffer_store_dword v128, off, s[28:31], 0 offset:200 ; 4-byte Folded Spill
	s_nop 0
	buffer_store_dword v129, off, s[28:31], 0 offset:204 ; 4-byte Folded Spill
	buffer_store_dword v136, off, s[28:31], 0 offset:192 ; 4-byte Folded Spill
	s_nop 0
	buffer_store_dword v137, off, s[28:31], 0 offset:196 ; 4-byte Folded Spill
	buffer_store_dword v122, off, s[28:31], 0 offset:184 ; 4-byte Folded Spill
	s_nop 0
	buffer_store_dword v123, off, s[28:31], 0 offset:188 ; 4-byte Folded Spill
	buffer_store_dword v134, off, s[28:31], 0 offset:176 ; 4-byte Folded Spill
	s_nop 0
	buffer_store_dword v135, off, s[28:31], 0 offset:180 ; 4-byte Folded Spill
	buffer_store_dword v126, off, s[28:31], 0 offset:168 ; 4-byte Folded Spill
	s_nop 0
	buffer_store_dword v127, off, s[28:31], 0 offset:172 ; 4-byte Folded Spill
	buffer_store_dword v120, off, s[28:31], 0 offset:160 ; 4-byte Folded Spill
	s_nop 0
	buffer_store_dword v121, off, s[28:31], 0 offset:164 ; 4-byte Folded Spill
	buffer_store_dword v112, off, s[28:31], 0 offset:152 ; 4-byte Folded Spill
	s_nop 0
	buffer_store_dword v113, off, s[28:31], 0 offset:156 ; 4-byte Folded Spill
	buffer_store_dword v100, off, s[28:31], 0 offset:144 ; 4-byte Folded Spill
	s_nop 0
	buffer_store_dword v101, off, s[28:31], 0 offset:148 ; 4-byte Folded Spill
	buffer_store_dword v116, off, s[28:31], 0 offset:136 ; 4-byte Folded Spill
	s_nop 0
	buffer_store_dword v117, off, s[28:31], 0 offset:140 ; 4-byte Folded Spill
	buffer_store_dword v110, off, s[28:31], 0 offset:128 ; 4-byte Folded Spill
	s_nop 0
	buffer_store_dword v111, off, s[28:31], 0 offset:132 ; 4-byte Folded Spill
	buffer_store_dword v104, off, s[28:31], 0 offset:120 ; 4-byte Folded Spill
	s_nop 0
	buffer_store_dword v105, off, s[28:31], 0 offset:124 ; 4-byte Folded Spill
	buffer_store_dword v102, off, s[28:31], 0 offset:112 ; 4-byte Folded Spill
	s_nop 0
	buffer_store_dword v103, off, s[28:31], 0 offset:116 ; 4-byte Folded Spill
	buffer_store_dword v92, off, s[28:31], 0 offset:104 ; 4-byte Folded Spill
	s_nop 0
	buffer_store_dword v93, off, s[28:31], 0 offset:108 ; 4-byte Folded Spill
	buffer_store_dword v84, off, s[28:31], 0 offset:96 ; 4-byte Folded Spill
	s_nop 0
	buffer_store_dword v85, off, s[28:31], 0 offset:100 ; 4-byte Folded Spill
	buffer_store_dword v78, off, s[28:31], 0 offset:88 ; 4-byte Folded Spill
	s_nop 0
	buffer_store_dword v79, off, s[28:31], 0 offset:92 ; 4-byte Folded Spill
	buffer_store_dword v54, off, s[28:31], 0 offset:80 ; 4-byte Folded Spill
	s_nop 0
	buffer_store_dword v55, off, s[28:31], 0 offset:84 ; 4-byte Folded Spill
	buffer_store_dword v96, off, s[28:31], 0 offset:72 ; 4-byte Folded Spill
	s_nop 0
	buffer_store_dword v97, off, s[28:31], 0 offset:76 ; 4-byte Folded Spill
	buffer_store_dword v26, off, s[28:31], 0 offset:64 ; 4-byte Folded Spill
	s_nop 0
	buffer_store_dword v27, off, s[28:31], 0 offset:68 ; 4-byte Folded Spill
	buffer_store_dword v28, off, s[28:31], 0 offset:56 ; 4-byte Folded Spill
	s_nop 0
	buffer_store_dword v29, off, s[28:31], 0 offset:60 ; 4-byte Folded Spill
	buffer_store_dword v24, off, s[28:31], 0 offset:48 ; 4-byte Folded Spill
	s_nop 0
	buffer_store_dword v25, off, s[28:31], 0 offset:52 ; 4-byte Folded Spill
	v_mov_b32_e32 v2, s16
	v_mov_b32_e32 v3, s17
	v_mul_f64 v[18:19], s[8:9], v[2:3]
	v_mul_f64 v[20:21], s[12:13], v[2:3]
	;; [unrolled: 1-line block ×8, first 2 shown]
	v_mov_b32_e32 v161, v143
	v_mov_b32_e32 v160, v142
	v_mov_b32_e32 v169, v151
	v_mov_b32_e32 v168, v150
	s_waitcnt vmcnt(62)
	v_mul_f64 v[2:3], v[42:43], v[26:27]
	v_mul_f64 v[4:5], v[38:39], v[26:27]
	;; [unrolled: 1-line block ×3, first 2 shown]
	v_mov_b32_e32 v151, v141
	v_mov_b32_e32 v150, v140
	;; [unrolled: 1-line block ×4, first 2 shown]
	v_fma_f64 v[2:3], v[30:31], v[16:17], v[2:3]
	v_fma_f64 v[4:5], v[12:13], v[16:17], v[4:5]
	;; [unrolled: 1-line block ×3, first 2 shown]
	v_mul_f64 v[12:13], v[50:51], v[14:15]
	v_fma_f64 v[2:3], v[60:61], v[22:23], v[2:3]
	v_fma_f64 v[4:5], v[64:65], v[22:23], v[4:5]
	;; [unrolled: 1-line block ×5, first 2 shown]
	v_mul_f64 v[8:9], v[44:45], v[14:15]
	v_fma_f64 v[6:7], v[72:73], v[20:21], v[6:7]
	v_fma_f64 v[12:13], v[58:59], v[24:25], v[12:13]
	;; [unrolled: 1-line block ×5, first 2 shown]
	v_mul_f64 v[48:49], v[88:89], v[2:3]
	v_fma_f64 v[8:9], v[62:63], v[24:25], v[8:9]
	v_mul_f64 v[30:31], v[4:5], v[12:13]
	v_fma_f64 v[48:49], v[86:87], v[4:5], -v[48:49]
	v_fma_f64 v[8:9], v[10:11], v[18:19], v[8:9]
	v_mul_f64 v[10:11], v[36:37], v[14:15]
	v_mul_f64 v[36:37], v[8:9], v[4:5]
	v_fma_f64 v[10:11], v[32:33], v[28:29], v[10:11]
	v_fma_f64 v[10:11], v[66:67], v[24:25], v[10:11]
	;; [unrolled: 1-line block ×3, first 2 shown]
	v_mul_f64 v[32:33], v[10:11], v[6:7]
	v_mul_f64 v[38:39], v[2:3], v[10:11]
	;; [unrolled: 1-line block ×4, first 2 shown]
	v_fma_f64 v[32:33], v[4:5], v[12:13], -v[32:33]
	v_fma_f64 v[46:47], v[88:89], v[8:9], -v[46:47]
	;; [unrolled: 1-line block ×3, first 2 shown]
	v_mul_f64 v[34:35], v[8:9], v[6:7]
	v_fma_f64 v[30:31], v[88:89], v[34:35], v[30:31]
	v_mul_f64 v[34:35], v[2:3], v[12:13]
	v_fma_f64 v[30:31], -v[88:89], v[34:35], v[30:31]
	v_fma_f64 v[34:35], v[8:9], v[6:7], -v[34:35]
	v_fma_f64 v[30:31], -v[90:91], v[36:37], v[30:31]
	v_fma_f64 v[36:37], v[2:3], v[10:11], -v[36:37]
	v_fma_f64 v[248:249], v[90:91], v[38:39], v[30:31]
	v_add_f64 v[30:31], v[248:249], s[4:5]
	v_div_scale_f64 v[38:39], s[18:19], v[30:31], v[30:31], 1.0
	v_rcp_f64_e32 v[40:41], v[38:39]
	v_fma_f64 v[42:43], -v[38:39], v[40:41], 1.0
	v_fma_f64 v[40:41], v[40:41], v[42:43], v[40:41]
	v_fma_f64 v[42:43], -v[38:39], v[40:41], 1.0
	v_fma_f64 v[40:41], v[40:41], v[42:43], v[40:41]
	v_div_scale_f64 v[42:43], vcc, 1.0, v[30:31], 1.0
	v_mul_f64 v[44:45], v[42:43], v[40:41]
	v_fma_f64 v[38:39], -v[38:39], v[44:45], v[42:43]
	v_mul_f64 v[42:43], v[90:91], v[8:9]
	s_nop 0
	v_div_fmas_f64 v[38:39], v[38:39], v[40:41], v[44:45]
	v_mul_f64 v[40:41], v[90:91], v[4:5]
	v_mul_f64 v[44:45], v[86:87], v[6:7]
	v_fma_f64 v[42:43], v[86:87], v[12:13], -v[42:43]
	v_fma_f64 v[40:41], v[88:89], v[6:7], -v[40:41]
	v_fma_f64 v[44:45], v[90:91], v[2:3], -v[44:45]
	v_div_fixup_f64 v[30:31], v[38:39], v[30:31], 1.0
	v_mul_f64 v[38:39], v[88:89], v[12:13]
	v_mul_f64 v[40:41], v[40:41], v[30:31]
	v_fma_f64 v[38:39], v[90:91], v[10:11], -v[38:39]
	v_mul_f64 v[32:33], v[32:33], v[30:31]
	v_mul_f64 v[44:45], v[44:45], v[30:31]
	;; [unrolled: 1-line block ×9, first 2 shown]
	v_add_f64 v[36:37], |v[248:249]|, s[4:5]
	v_ldexp_f64 v[248:249], |v[248:249]|, -3
	v_fma_f64 v[52:53], v[16:17], v[38:39], v[50:51]
	v_fma_f64 v[142:143], v[32:33], 0, v[52:53]
	v_mul_f64 v[52:53], v[44:45], 0
	v_fma_f64 v[54:55], v[16:17], v[42:43], v[52:53]
	v_fma_f64 v[146:147], v[34:35], 0, v[54:55]
	v_mul_f64 v[54:55], v[48:49], 0
	v_fma_f64 v[16:17], v[16:17], v[46:47], v[54:55]
	v_fma_f64 v[144:145], v[30:31], 0, v[16:17]
	;; [unrolled: 1-line block ×20, first 2 shown]
	v_mul_f64 v[16:17], v[38:39], 0
	v_fma_f64 v[20:21], v[14:15], v[40:41], v[16:17]
	v_fma_f64 v[118:119], v[32:33], 0, v[20:21]
	v_mul_f64 v[20:21], v[42:43], 0
	v_fma_f64 v[22:23], v[14:15], v[44:45], v[20:21]
	v_fma_f64 v[122:123], v[34:35], 0, v[22:23]
	v_mul_f64 v[22:23], v[46:47], 0
	v_fma_f64 v[14:15], v[14:15], v[48:49], v[22:23]
	v_fma_f64 v[120:121], v[30:31], 0, v[14:15]
	v_fma_f64 v[14:15], v[28:29], v[40:41], v[16:17]
	v_fma_f64 v[110:111], v[32:33], 0, v[14:15]
	v_fma_f64 v[14:15], v[28:29], v[44:45], v[20:21]
	v_fma_f64 v[116:117], v[34:35], 0, v[14:15]
	v_fma_f64 v[14:15], v[28:29], v[48:49], v[22:23]
	v_fma_f64 v[112:113], v[30:31], 0, v[14:15]
	v_fma_f64 v[14:15], v[24:25], v[40:41], v[16:17]
	v_fma_f64 v[100:101], v[32:33], 0, v[14:15]
	v_fma_f64 v[14:15], v[24:25], v[44:45], v[20:21]
	v_fma_f64 v[104:105], v[34:35], 0, v[14:15]
	v_fma_f64 v[14:15], v[24:25], v[48:49], v[22:23]
	v_fma_f64 v[102:103], v[30:31], 0, v[14:15]
	v_fma_f64 v[14:15], v[18:19], v[40:41], v[16:17]
	v_fma_f64 v[16:17], v[42:43], 0, v[52:53]
	v_fma_f64 v[84:85], v[32:33], 0, v[14:15]
	v_fma_f64 v[14:15], v[18:19], v[44:45], v[20:21]
	v_mul_f64 v[20:21], v[74:75], v[76:77]
	v_fma_f64 v[96:97], v[34:35], 0, v[14:15]
	v_fma_f64 v[14:15], v[18:19], v[48:49], v[22:23]
	;; [unrolled: 1-line block ×8, first 2 shown]
	buffer_load_dword v20, off, s[28:31], 0 offset:320 ; 4-byte Folded Reload
	buffer_load_dword v21, off, s[28:31], 0 offset:324 ; 4-byte Folded Reload
	s_waitcnt vmcnt(0)
	v_fma_f64 v[66:67], v[20:21], v[32:33], v[14:15]
	v_fma_f64 v[70:71], v[20:21], v[34:35], v[16:17]
	;; [unrolled: 1-line block ×3, first 2 shown]
	buffer_load_dword v20, off, s[28:31], 0 offset:336 ; 4-byte Folded Reload
	buffer_load_dword v21, off, s[28:31], 0 offset:340 ; 4-byte Folded Reload
	s_waitcnt vmcnt(0)
	v_fma_f64 v[52:53], v[20:21], v[32:33], v[14:15]
	v_fma_f64 v[58:59], v[20:21], v[34:35], v[16:17]
	;; [unrolled: 1-line block ×3, first 2 shown]
	buffer_load_dword v20, off, s[28:31], 0 offset:328 ; 4-byte Folded Reload
	buffer_load_dword v21, off, s[28:31], 0 offset:332 ; 4-byte Folded Reload
	s_waitcnt vmcnt(0)
	v_fma_f64 v[42:43], v[20:21], v[32:33], v[14:15]
	v_div_scale_f64 v[14:15], s[18:19], v[36:37], v[36:37], 1.0
	v_fma_f64 v[48:49], v[20:21], v[34:35], v[16:17]
	v_fma_f64 v[44:45], v[20:21], v[30:31], v[18:19]
	s_mov_b64 s[18:19], 0
	v_rcp_f64_e32 v[16:17], v[14:15]
	v_fma_f64 v[18:19], -v[14:15], v[16:17], 1.0
	v_fma_f64 v[16:17], v[16:17], v[18:19], v[16:17]
	v_fma_f64 v[18:19], -v[14:15], v[16:17], 1.0
	v_fma_f64 v[16:17], v[16:17], v[18:19], v[16:17]
	v_div_scale_f64 v[18:19], vcc, 1.0, v[36:37], 1.0
	v_mul_f64 v[20:21], v[18:19], v[16:17]
	v_fma_f64 v[14:15], -v[14:15], v[20:21], v[18:19]
	s_nop 1
	v_div_fmas_f64 v[14:15], v[14:15], v[16:17], v[20:21]
	s_and_b64 vcc, exec, s[0:1]
	v_div_fixup_f64 v[14:15], v[14:15], v[36:37], 1.0
	v_mul_f64 v[56:57], v[2:3], v[14:15]
	v_mul_f64 v[2:3], v[8:9], v[14:15]
	;; [unrolled: 1-line block ×10, first 2 shown]
	v_mul_f64 v[12:13], v[2:3], -v[76:77]
	v_mul_f64 v[184:185], v[2:3], -s[12:13]
	v_mul_f64 v[26:27], v[76:77], v[2:3]
	v_mul_f64 v[220:221], s[12:13], v[2:3]
	v_mul_f64 v[16:17], v[4:5], -v[76:77]
	v_mul_f64 v[188:189], v[4:5], -s[12:13]
	v_fma_f64 v[10:11], v[2:3], -v[76:77], v[8:9]
	v_mul_f64 v[32:33], v[76:77], v[4:5]
	v_mul_f64 v[226:227], s[12:13], v[4:5]
	v_mul_f64 v[36:37], v[6:7], 0
	v_mul_f64 v[176:177], v[6:7], -v[76:77]
	v_mul_f64 v[200:201], v[6:7], -s[12:13]
	v_mul_f64 v[208:209], v[76:77], v[6:7]
	v_mul_f64 v[250:251], s[12:13], v[6:7]
	v_fma_f64 v[106:107], v[0:1], v[154:155], v[10:11]
	v_mul_f64 v[10:11], v[156:157], 0
	v_fma_f64 v[14:15], v[4:5], -v[76:77], v[10:11]
	v_fma_f64 v[114:115], v[0:1], v[162:163], v[14:15]
	v_mul_f64 v[14:15], v[170:171], 0
	v_fma_f64 v[18:19], v[6:7], -v[76:77], v[14:15]
	v_fma_f64 v[108:109], v[0:1], v[148:149], v[18:19]
	v_fma_f64 v[18:19], v[2:3], -s[12:13], v[8:9]
	v_fma_f64 v[82:83], -v[154:155], v[0:1], v[18:19]
	v_fma_f64 v[18:19], v[4:5], -s[12:13], v[10:11]
	v_fma_f64 v[98:99], -v[162:163], v[0:1], v[18:19]
	;; [unrolled: 2-line block ×3, first 2 shown]
	v_fma_f64 v[18:19], v[76:77], v[2:3], v[8:9]
	v_fma_f64 v[8:9], s[12:13], v[2:3], v[8:9]
	v_mul_f64 v[2:3], v[2:3], 0
	v_fma_f64 v[38:39], s[16:17], v[154:155], v[18:19]
	v_fma_f64 v[28:29], -v[154:155], s[16:17], v[8:9]
	v_fma_f64 v[8:9], s[12:13], v[4:5], v[10:11]
	v_fma_f64 v[18:19], v[76:77], v[4:5], v[10:11]
	v_fma_f64 v[34:35], -v[162:163], s[16:17], v[8:9]
	v_fma_f64 v[8:9], s[12:13], v[6:7], v[14:15]
	v_fma_f64 v[62:63], s[16:17], v[162:163], v[18:19]
	;; [unrolled: 1-line block ×3, first 2 shown]
	v_fma_f64 v[30:31], -v[148:149], s[16:17], v[8:9]
	v_fma_f64 v[8:9], v[74:75], v[56:57], v[2:3]
	v_fma_f64 v[46:47], s[16:17], v[148:149], v[18:19]
	v_fma_f64 v[20:21], v[154:155], -v[0:1], v[8:9]
	v_mul_f64 v[8:9], v[4:5], 0
	v_fma_f64 v[4:5], v[74:75], v[156:157], v[8:9]
	v_fma_f64 v[24:25], v[162:163], -v[0:1], v[4:5]
	v_fma_f64 v[4:5], v[74:75], v[170:171], v[36:37]
	v_fma_f64 v[22:23], v[148:149], -v[0:1], v[4:5]
	v_fma_f64 v[4:5], s[8:9], v[56:57], v[2:3]
	v_fma_f64 v[10:11], v[0:1], v[154:155], v[4:5]
	;; [unrolled: 1-line block ×6, first 2 shown]
	v_fma_f64 v[0:1], -v[56:57], v[74:75], v[2:3]
	v_fma_f64 v[64:65], v[154:155], -s[16:17], v[0:1]
	v_fma_f64 v[0:1], -v[156:157], v[74:75], v[8:9]
	v_fma_f64 v[6:7], v[162:163], -s[16:17], v[0:1]
	;; [unrolled: 2-line block ×4, first 2 shown]
	v_fma_f64 v[40:41], s[16:17], v[154:155], v[0:1]
	v_fma_f64 v[0:1], -v[156:157], s[8:9], v[8:9]
	v_fma_f64 v[16:17], v[162:163], 0, v[2:3]
	v_fma_f64 v[2:3], v[170:171], -s[8:9], v[176:177]
	v_fma_f64 v[60:61], s[16:17], v[162:163], v[0:1]
	v_fma_f64 v[0:1], -v[170:171], s[8:9], v[36:37]
	v_fma_f64 v[8:9], v[148:149], 0, v[2:3]
	v_fma_f64 v[2:3], v[74:75], v[56:57], v[220:221]
	;; [unrolled: 1-line block ×3, first 2 shown]
	v_fma_f64 v[0:1], v[56:57], -v[74:75], v[26:27]
	v_fma_f64 v[252:253], v[154:155], 0, v[2:3]
	v_fma_f64 v[2:3], v[74:75], v[156:157], v[226:227]
	s_mov_b64 s[16:17], s[6:7]
	v_fma_f64 v[26:27], v[154:155], 0, v[0:1]
	v_fma_f64 v[0:1], v[156:157], -v[74:75], v[32:33]
	v_fma_f64 v[2:3], v[162:163], 0, v[2:3]
	v_fma_f64 v[36:37], v[162:163], 0, v[0:1]
	v_fma_f64 v[0:1], v[170:171], -v[74:75], v[208:209]
	v_fma_f64 v[32:33], v[148:149], 0, v[0:1]
	v_fma_f64 v[0:1], v[56:57], -s[8:9], v[12:13]
	v_fma_f64 v[12:13], v[74:75], v[170:171], v[250:251]
	v_fma_f64 v[0:1], v[154:155], 0, v[0:1]
	;; [unrolled: 1-line block ×9, first 2 shown]
	v_mul_f64 v[148:149], v[146:147], v[146:147]
	v_fma_f64 v[148:149], v[142:143], v[142:143], v[148:149]
	v_fma_f64 v[148:149], v[144:145], v[144:145], v[148:149]
	v_fma_f64 v[244:245], v[248:249], v[148:149], v[244:245]
	v_mul_f64 v[148:149], v[146:147], v[140:141]
	v_fma_f64 v[148:149], v[142:143], v[136:137], v[148:149]
	v_fma_f64 v[148:149], v[144:145], v[138:139], v[148:149]
	v_fma_f64 v[242:243], v[248:249], v[148:149], v[242:243]
	;; [unrolled: 4-line block ×10, first 2 shown]
	v_mul_f64 v[148:149], v[146:147], v[58:59]
	v_mul_f64 v[146:147], v[146:147], v[48:49]
	v_fma_f64 v[148:149], v[142:143], v[52:53], v[148:149]
	v_fma_f64 v[142:143], v[142:143], v[42:43], v[146:147]
	buffer_load_dword v146, off, s[28:31], 0 offset:32 ; 4-byte Folded Reload
	buffer_load_dword v147, off, s[28:31], 0 offset:36 ; 4-byte Folded Reload
	v_fma_f64 v[148:149], v[144:145], v[54:55], v[148:149]
	v_fma_f64 v[142:143], v[144:145], v[44:45], v[142:143]
	v_mul_f64 v[144:145], v[140:141], v[140:141]
	v_fma_f64 v[196:197], v[248:249], v[148:149], v[196:197]
	buffer_load_dword v148, off, s[28:31], 0 offset:24 ; 4-byte Folded Reload
	buffer_load_dword v149, off, s[28:31], 0 offset:28 ; 4-byte Folded Reload
	v_fma_f64 v[144:145], v[136:137], v[136:137], v[144:145]
	v_fma_f64 v[142:143], v[248:249], v[142:143], v[246:247]
	;; [unrolled: 1-line block ×3, first 2 shown]
	s_waitcnt vmcnt(2)
	v_fma_f64 v[144:145], v[248:249], v[144:145], v[146:147]
	v_mul_f64 v[146:147], v[140:141], v[134:135]
	v_fma_f64 v[146:147], v[136:137], v[130:131], v[146:147]
	v_fma_f64 v[146:147], v[138:139], v[132:133], v[146:147]
	s_waitcnt vmcnt(0)
	v_fma_f64 v[146:147], v[248:249], v[146:147], v[148:149]
	v_mul_f64 v[148:149], v[140:141], v[128:129]
	v_fma_f64 v[148:149], v[136:137], v[124:125], v[148:149]
	v_fma_f64 v[148:149], v[138:139], v[126:127], v[148:149]
	v_fma_f64 v[228:229], v[248:249], v[148:149], v[228:229]
	v_mul_f64 v[148:149], v[140:141], v[122:123]
	v_fma_f64 v[148:149], v[136:137], v[118:119], v[148:149]
	v_fma_f64 v[148:149], v[138:139], v[120:121], v[148:149]
	;; [unrolled: 4-line block ×7, first 2 shown]
	v_fma_f64 v[186:187], v[248:249], v[148:149], v[186:187]
	v_mul_f64 v[148:149], v[140:141], v[58:59]
	v_mul_f64 v[140:141], v[140:141], v[48:49]
	v_fma_f64 v[148:149], v[136:137], v[52:53], v[148:149]
	v_fma_f64 v[136:137], v[136:137], v[42:43], v[140:141]
	buffer_load_dword v140, off, s[28:31], 0 offset:40 ; 4-byte Folded Reload
	buffer_load_dword v141, off, s[28:31], 0 offset:44 ; 4-byte Folded Reload
	v_fma_f64 v[148:149], v[138:139], v[54:55], v[148:149]
	v_fma_f64 v[136:137], v[138:139], v[44:45], v[136:137]
	v_mul_f64 v[138:139], v[134:135], v[134:135]
	v_fma_f64 v[178:179], v[248:249], v[148:149], v[178:179]
	buffer_load_dword v148, off, s[28:31], 0 offset:16 ; 4-byte Folded Reload
	buffer_load_dword v149, off, s[28:31], 0 offset:20 ; 4-byte Folded Reload
	v_fma_f64 v[138:139], v[130:131], v[130:131], v[138:139]
	v_fma_f64 v[136:137], v[248:249], v[136:137], v[232:233]
	;; [unrolled: 1-line block ×3, first 2 shown]
	s_waitcnt vmcnt(2)
	v_fma_f64 v[138:139], v[248:249], v[138:139], v[140:141]
	v_mul_f64 v[140:141], v[134:135], v[128:129]
	v_fma_f64 v[140:141], v[130:131], v[124:125], v[140:141]
	v_fma_f64 v[140:141], v[132:133], v[126:127], v[140:141]
	s_waitcnt vmcnt(0)
	v_fma_f64 v[140:141], v[248:249], v[140:141], v[148:149]
	v_mul_f64 v[148:149], v[134:135], v[122:123]
	v_fma_f64 v[148:149], v[130:131], v[118:119], v[148:149]
	v_fma_f64 v[148:149], v[132:133], v[120:121], v[148:149]
	v_fma_f64 v[214:215], v[248:249], v[148:149], v[214:215]
	v_mul_f64 v[148:149], v[134:135], v[116:117]
	v_fma_f64 v[148:149], v[130:131], v[110:111], v[148:149]
	v_fma_f64 v[148:149], v[132:133], v[112:113], v[148:149]
	;; [unrolled: 4-line block ×6, first 2 shown]
	v_fma_f64 v[172:173], v[248:249], v[148:149], v[172:173]
	v_mul_f64 v[148:149], v[134:135], v[58:59]
	v_mul_f64 v[134:135], v[134:135], v[48:49]
	v_fma_f64 v[148:149], v[130:131], v[52:53], v[148:149]
	v_fma_f64 v[130:131], v[130:131], v[42:43], v[134:135]
	buffer_load_dword v134, off, s[28:31], 0 offset:8 ; 4-byte Folded Reload
	buffer_load_dword v135, off, s[28:31], 0 offset:12 ; 4-byte Folded Reload
	v_fma_f64 v[148:149], v[132:133], v[54:55], v[148:149]
	v_fma_f64 v[130:131], v[132:133], v[44:45], v[130:131]
	v_mul_f64 v[132:133], v[128:129], v[128:129]
	v_fma_f64 v[164:165], v[248:249], v[148:149], v[164:165]
	buffer_load_dword v148, off, s[28:31], 0 ; 4-byte Folded Reload
	buffer_load_dword v149, off, s[28:31], 0 offset:4 ; 4-byte Folded Reload
	v_fma_f64 v[132:133], v[124:125], v[124:125], v[132:133]
	v_fma_f64 v[130:131], v[248:249], v[130:131], v[150:151]
	;; [unrolled: 1-line block ×3, first 2 shown]
	s_waitcnt vmcnt(2)
	v_fma_f64 v[132:133], v[248:249], v[132:133], v[134:135]
	v_mul_f64 v[134:135], v[128:129], v[122:123]
	v_fma_f64 v[134:135], v[124:125], v[118:119], v[134:135]
	v_fma_f64 v[134:135], v[126:127], v[120:121], v[134:135]
	s_waitcnt vmcnt(0)
	v_fma_f64 v[134:135], v[248:249], v[134:135], v[148:149]
	v_mul_f64 v[148:149], v[128:129], v[116:117]
	v_fma_f64 v[148:149], v[124:125], v[110:111], v[148:149]
	v_fma_f64 v[148:149], v[126:127], v[112:113], v[148:149]
	v_fma_f64 v[192:193], v[248:249], v[148:149], v[192:193]
	v_mul_f64 v[148:149], v[128:129], v[104:105]
	v_fma_f64 v[148:149], v[124:125], v[100:101], v[148:149]
	v_fma_f64 v[148:149], v[126:127], v[102:103], v[148:149]
	;; [unrolled: 4-line block ×5, first 2 shown]
	v_fma_f64 v[158:159], v[248:249], v[148:149], v[158:159]
	v_mul_f64 v[148:149], v[128:129], v[58:59]
	v_mul_f64 v[128:129], v[128:129], v[48:49]
	v_fma_f64 v[148:149], v[124:125], v[52:53], v[148:149]
	v_fma_f64 v[124:125], v[124:125], v[42:43], v[128:129]
	v_mul_f64 v[128:129], v[122:123], v[116:117]
	v_fma_f64 v[148:149], v[126:127], v[54:55], v[148:149]
	v_fma_f64 v[124:125], v[126:127], v[44:45], v[124:125]
	;; [unrolled: 1-line block ×3, first 2 shown]
	v_mul_f64 v[126:127], v[122:123], v[122:123]
	v_fma_f64 v[150:151], v[248:249], v[148:149], v[160:161]
	v_fma_f64 v[124:125], v[248:249], v[124:125], v[152:153]
	buffer_load_dword v152, off, s[28:31], 0 offset:256 ; 4-byte Folded Reload
	buffer_load_dword v153, off, s[28:31], 0 offset:260 ; 4-byte Folded Reload
	v_mul_f64 v[148:149], v[122:123], v[104:105]
	v_fma_f64 v[128:129], v[120:121], v[112:113], v[128:129]
	v_fma_f64 v[126:127], v[118:119], v[118:119], v[126:127]
	v_fma_f64 v[148:149], v[118:119], v[100:101], v[148:149]
	v_fma_f64 v[128:129], v[248:249], v[128:129], v[168:169]
	v_fma_f64 v[126:127], v[120:121], v[120:121], v[126:127]
	v_fma_f64 v[148:149], v[120:121], v[102:103], v[148:149]
	v_fma_f64 v[126:127], v[248:249], v[126:127], v[236:237]
	s_waitcnt vmcnt(0)
	v_fma_f64 v[168:169], v[248:249], v[148:149], v[152:153]
	buffer_load_dword v152, off, s[28:31], 0 offset:248 ; 4-byte Folded Reload
	buffer_load_dword v153, off, s[28:31], 0 offset:252 ; 4-byte Folded Reload
	v_mul_f64 v[148:149], v[122:123], v[96:97]
	v_fma_f64 v[148:149], v[118:119], v[84:85], v[148:149]
	v_fma_f64 v[148:149], v[120:121], v[92:93], v[148:149]
	s_waitcnt vmcnt(0)
	v_fma_f64 v[160:161], v[248:249], v[148:149], v[152:153]
	buffer_load_dword v152, off, s[28:31], 0 offset:240 ; 4-byte Folded Reload
	buffer_load_dword v153, off, s[28:31], 0 offset:244 ; 4-byte Folded Reload
	;; [unrolled: 1-line block ×4, first 2 shown]
	v_mul_f64 v[148:149], v[122:123], v[78:79]
	buffer_load_dword v156, off, s[28:31], 0 offset:224 ; 4-byte Folded Reload
	buffer_load_dword v157, off, s[28:31], 0 offset:228 ; 4-byte Folded Reload
	v_fma_f64 v[148:149], v[118:119], v[72:73], v[148:149]
	v_fma_f64 v[148:149], v[120:121], v[80:81], v[148:149]
	s_waitcnt vmcnt(4)
	v_fma_f64 v[152:153], v[248:249], v[148:149], v[152:153]
	v_mul_f64 v[148:149], v[122:123], v[70:71]
	v_fma_f64 v[148:149], v[118:119], v[66:67], v[148:149]
	v_fma_f64 v[148:149], v[120:121], v[68:69], v[148:149]
	s_waitcnt vmcnt(2)
	v_fma_f64 v[148:149], v[248:249], v[148:149], v[154:155]
	v_mul_f64 v[154:155], v[122:123], v[58:59]
	v_mul_f64 v[122:123], v[122:123], v[48:49]
	v_fma_f64 v[154:155], v[118:119], v[52:53], v[154:155]
	v_fma_f64 v[118:119], v[118:119], v[42:43], v[122:123]
	;; [unrolled: 1-line block ×4, first 2 shown]
	buffer_load_dword v120, off, s[28:31], 0 offset:216 ; 4-byte Folded Reload
	buffer_load_dword v121, off, s[28:31], 0 offset:220 ; 4-byte Folded Reload
	;; [unrolled: 1-line block ×4, first 2 shown]
	s_waitcnt vmcnt(4)
	v_fma_f64 v[154:155], v[248:249], v[154:155], v[156:157]
	buffer_load_dword v156, off, s[28:31], 0 offset:208 ; 4-byte Folded Reload
	buffer_load_dword v157, off, s[28:31], 0 offset:212 ; 4-byte Folded Reload
	;; [unrolled: 1-line block ×10, first 2 shown]
	s_waitcnt vmcnt(12)
	v_fma_f64 v[118:119], v[248:249], v[118:119], v[120:121]
	v_mul_f64 v[120:121], v[116:117], v[116:117]
	v_fma_f64 v[120:121], v[110:111], v[110:111], v[120:121]
	v_fma_f64 v[120:121], v[112:113], v[112:113], v[120:121]
	s_waitcnt vmcnt(10)
	v_fma_f64 v[120:121], v[248:249], v[120:121], v[122:123]
	v_mul_f64 v[122:123], v[116:117], v[104:105]
	v_fma_f64 v[122:123], v[110:111], v[100:101], v[122:123]
	v_fma_f64 v[122:123], v[112:113], v[102:103], v[122:123]
	;; [unrolled: 5-line block ×5, first 2 shown]
	s_waitcnt vmcnt(2)
	v_fma_f64 v[170:171], v[248:249], v[170:171], v[176:177]
	v_mul_f64 v[176:177], v[116:117], v[58:59]
	v_mul_f64 v[116:117], v[116:117], v[48:49]
	v_fma_f64 v[176:177], v[110:111], v[52:53], v[176:177]
	v_fma_f64 v[110:111], v[110:111], v[42:43], v[116:117]
	;; [unrolled: 1-line block ×4, first 2 shown]
	buffer_load_dword v112, off, s[28:31], 0 offset:296 ; 4-byte Folded Reload
	buffer_load_dword v113, off, s[28:31], 0 offset:300 ; 4-byte Folded Reload
	;; [unrolled: 1-line block ×4, first 2 shown]
	s_waitcnt vmcnt(4)
	v_fma_f64 v[176:177], v[248:249], v[176:177], v[184:185]
	buffer_load_dword v184, off, s[28:31], 0 offset:168 ; 4-byte Folded Reload
	buffer_load_dword v185, off, s[28:31], 0 offset:172 ; 4-byte Folded Reload
	;; [unrolled: 1-line block ×8, first 2 shown]
	s_waitcnt vmcnt(10)
	v_fma_f64 v[110:111], v[248:249], v[110:111], v[112:113]
	v_mul_f64 v[112:113], v[104:105], v[104:105]
	v_fma_f64 v[112:113], v[100:101], v[100:101], v[112:113]
	v_fma_f64 v[112:113], v[102:103], v[102:103], v[112:113]
	s_waitcnt vmcnt(8)
	v_fma_f64 v[112:113], v[248:249], v[112:113], v[116:117]
	v_mul_f64 v[116:117], v[104:105], v[96:97]
	v_fma_f64 v[116:117], v[100:101], v[84:85], v[116:117]
	v_fma_f64 v[116:117], v[102:103], v[92:93], v[116:117]
	;; [unrolled: 5-line block ×4, first 2 shown]
	s_waitcnt vmcnt(2)
	v_fma_f64 v[188:189], v[248:249], v[188:189], v[200:201]
	v_mul_f64 v[200:201], v[104:105], v[58:59]
	v_mul_f64 v[104:105], v[104:105], v[48:49]
	v_fma_f64 v[200:201], v[100:101], v[52:53], v[200:201]
	v_fma_f64 v[100:101], v[100:101], v[42:43], v[104:105]
	v_fma_f64 v[200:201], v[102:103], v[54:55], v[200:201]
	v_fma_f64 v[100:101], v[102:103], v[44:45], v[100:101]
	buffer_load_dword v102, off, s[28:31], 0 offset:144 ; 4-byte Folded Reload
	buffer_load_dword v103, off, s[28:31], 0 offset:148 ; 4-byte Folded Reload
	;; [unrolled: 1-line block ×4, first 2 shown]
	s_waitcnt vmcnt(4)
	v_fma_f64 v[200:201], v[248:249], v[200:201], v[208:209]
	buffer_load_dword v208, off, s[28:31], 0 offset:128 ; 4-byte Folded Reload
	buffer_load_dword v209, off, s[28:31], 0 offset:132 ; 4-byte Folded Reload
	;; [unrolled: 1-line block ×6, first 2 shown]
	s_waitcnt vmcnt(8)
	v_fma_f64 v[100:101], v[248:249], v[100:101], v[102:103]
	v_mul_f64 v[102:103], v[96:97], v[96:97]
	v_fma_f64 v[102:103], v[84:85], v[84:85], v[102:103]
	v_fma_f64 v[102:103], v[92:93], v[92:93], v[102:103]
	s_waitcnt vmcnt(6)
	v_fma_f64 v[102:103], v[248:249], v[102:103], v[104:105]
	v_mul_f64 v[104:105], v[96:97], v[78:79]
	v_fma_f64 v[104:105], v[84:85], v[72:73], v[104:105]
	v_fma_f64 v[104:105], v[92:93], v[80:81], v[104:105]
	;; [unrolled: 5-line block ×3, first 2 shown]
	s_waitcnt vmcnt(2)
	v_fma_f64 v[208:209], v[248:249], v[208:209], v[220:221]
	v_mul_f64 v[220:221], v[96:97], v[58:59]
	v_mul_f64 v[96:97], v[96:97], v[48:49]
	v_fma_f64 v[220:221], v[84:85], v[52:53], v[220:221]
	v_fma_f64 v[84:85], v[84:85], v[42:43], v[96:97]
	;; [unrolled: 1-line block ×4, first 2 shown]
	buffer_load_dword v92, off, s[28:31], 0 offset:272 ; 4-byte Folded Reload
	buffer_load_dword v93, off, s[28:31], 0 offset:276 ; 4-byte Folded Reload
	;; [unrolled: 1-line block ×4, first 2 shown]
	s_waitcnt vmcnt(4)
	v_fma_f64 v[220:221], v[248:249], v[220:221], v[226:227]
	buffer_load_dword v226, off, s[28:31], 0 offset:104 ; 4-byte Folded Reload
	buffer_load_dword v227, off, s[28:31], 0 offset:108 ; 4-byte Folded Reload
	;; [unrolled: 1-line block ×4, first 2 shown]
	s_waitcnt vmcnt(6)
	v_fma_f64 v[84:85], v[248:249], v[84:85], v[92:93]
	v_mul_f64 v[92:93], v[78:79], v[78:79]
	v_fma_f64 v[92:93], v[72:73], v[72:73], v[92:93]
	v_fma_f64 v[92:93], v[80:81], v[80:81], v[92:93]
	s_waitcnt vmcnt(4)
	v_fma_f64 v[92:93], v[248:249], v[92:93], v[96:97]
	v_mul_f64 v[96:97], v[78:79], v[70:71]
	v_fma_f64 v[96:97], v[72:73], v[66:67], v[96:97]
	v_fma_f64 v[96:97], v[80:81], v[68:69], v[96:97]
	s_waitcnt vmcnt(2)
	v_fma_f64 v[96:97], v[248:249], v[96:97], v[226:227]
	v_mul_f64 v[226:227], v[78:79], v[58:59]
	v_mul_f64 v[78:79], v[78:79], v[48:49]
	v_fma_f64 v[226:227], v[72:73], v[52:53], v[226:227]
	v_fma_f64 v[72:73], v[72:73], v[42:43], v[78:79]
	buffer_load_dword v78, off, s[28:31], 0 offset:80 ; 4-byte Folded Reload
	buffer_load_dword v79, off, s[28:31], 0 offset:84 ; 4-byte Folded Reload
	v_fma_f64 v[226:227], v[80:81], v[54:55], v[226:227]
	v_fma_f64 v[72:73], v[80:81], v[44:45], v[72:73]
	buffer_load_dword v80, off, s[28:31], 0 offset:264 ; 4-byte Folded Reload
	buffer_load_dword v81, off, s[28:31], 0 offset:268 ; 4-byte Folded Reload
	s_waitcnt vmcnt(4)
	v_fma_f64 v[226:227], v[248:249], v[226:227], v[232:233]
	buffer_load_dword v232, off, s[28:31], 0 offset:88 ; 4-byte Folded Reload
	buffer_load_dword v233, off, s[28:31], 0 offset:92 ; 4-byte Folded Reload
	s_waitcnt vmcnt(4)
	v_fma_f64 v[72:73], v[248:249], v[72:73], v[78:79]
	v_mul_f64 v[78:79], v[70:71], v[70:71]
	v_fma_f64 v[78:79], v[66:67], v[66:67], v[78:79]
	v_fma_f64 v[78:79], v[68:69], v[68:69], v[78:79]
	s_waitcnt vmcnt(2)
	v_fma_f64 v[78:79], v[248:249], v[78:79], v[80:81]
	v_mul_f64 v[80:81], v[70:71], v[58:59]
	v_mul_f64 v[70:71], v[70:71], v[48:49]
	v_fma_f64 v[80:81], v[66:67], v[52:53], v[80:81]
	v_fma_f64 v[66:67], v[66:67], v[42:43], v[70:71]
	buffer_load_dword v70, off, s[28:31], 0 offset:528 ; 4-byte Folded Reload
	buffer_load_dword v71, off, s[28:31], 0 offset:532 ; 4-byte Folded Reload
	v_fma_f64 v[80:81], v[68:69], v[54:55], v[80:81]
	v_fma_f64 v[66:67], v[68:69], v[44:45], v[66:67]
	buffer_load_dword v68, off, s[28:31], 0 offset:64 ; 4-byte Folded Reload
	buffer_load_dword v69, off, s[28:31], 0 offset:68 ; 4-byte Folded Reload
	s_waitcnt vmcnt(4)
	v_fma_f64 v[80:81], v[248:249], v[80:81], v[232:233]
	buffer_load_dword v232, off, s[28:31], 0 offset:56 ; 4-byte Folded Reload
	buffer_load_dword v233, off, s[28:31], 0 offset:60 ; 4-byte Folded Reload
	s_waitcnt vmcnt(2)
	v_fma_f64 v[66:67], v[248:249], v[66:67], v[68:69]
	v_mul_f64 v[68:69], v[58:59], v[58:59]
	v_mul_f64 v[58:59], v[58:59], v[48:49]
	v_mul_f64 v[48:49], v[48:49], v[48:49]
	v_fma_f64 v[68:69], v[52:53], v[52:53], v[68:69]
	v_fma_f64 v[52:53], v[52:53], v[42:43], v[58:59]
	;; [unrolled: 1-line block ×3, first 2 shown]
	buffer_load_dword v58, off, s[28:31], 0 offset:504 ; 4-byte Folded Reload
	buffer_load_dword v59, off, s[28:31], 0 offset:508 ; 4-byte Folded Reload
	v_fma_f64 v[68:69], v[54:55], v[54:55], v[68:69]
	v_fma_f64 v[52:53], v[54:55], v[44:45], v[52:53]
	buffer_load_dword v54, off, s[28:31], 0 offset:48 ; 4-byte Folded Reload
	buffer_load_dword v55, off, s[28:31], 0 offset:52 ; 4-byte Folded Reload
	;; [unrolled: 1-line block ×4, first 2 shown]
	v_fma_f64 v[42:43], v[44:45], v[44:45], v[42:43]
	buffer_load_dword v44, off, s[28:31], 0 offset:72 ; 4-byte Folded Reload
	buffer_load_dword v45, off, s[28:31], 0 offset:76 ; 4-byte Folded Reload
	s_waitcnt vmcnt(8)
	v_fma_f64 v[68:69], v[248:249], v[68:69], v[232:233]
	s_waitcnt vmcnt(4)
	v_fma_f64 v[52:53], v[248:249], v[52:53], v[54:55]
	;; [unrolled: 2-line block ×3, first 2 shown]
	v_mul_f64 v[44:45], v[114:115], v[114:115]
	v_fma_f64 v[44:45], v[106:107], v[106:107], v[44:45]
	v_fma_f64 v[44:45], v[108:109], v[108:109], v[44:45]
	v_fma_f64 v[244:245], v[248:249], v[44:45], v[244:245]
	v_mul_f64 v[44:45], v[114:115], v[98:99]
	v_fma_f64 v[44:45], v[106:107], v[82:83], v[44:45]
	v_fma_f64 v[44:45], v[108:109], v[94:95], v[44:45]
	v_fma_f64 v[242:243], v[248:249], v[44:45], v[242:243]
	;; [unrolled: 4-line block ×13, first 2 shown]
	buffer_store_dword v44, off, s[28:31], 0 offset:32 ; 4-byte Folded Spill
	s_nop 0
	buffer_store_dword v45, off, s[28:31], 0 offset:36 ; 4-byte Folded Spill
	v_mul_f64 v[44:45], v[98:99], v[62:63]
	v_fma_f64 v[44:45], v[82:83], v[38:39], v[44:45]
	v_fma_f64 v[44:45], v[94:95], v[46:47], v[44:45]
	;; [unrolled: 1-line block ×3, first 2 shown]
	buffer_store_dword v44, off, s[28:31], 0 offset:24 ; 4-byte Folded Spill
	s_nop 0
	buffer_store_dword v45, off, s[28:31], 0 offset:28 ; 4-byte Folded Spill
	v_mul_f64 v[44:45], v[98:99], v[34:35]
	v_fma_f64 v[44:45], v[82:83], v[28:29], v[44:45]
	v_fma_f64 v[44:45], v[94:95], v[30:31], v[44:45]
	v_fma_f64 v[228:229], v[248:249], v[44:45], v[228:229]
	v_mul_f64 v[44:45], v[98:99], v[24:25]
	v_fma_f64 v[44:45], v[82:83], v[20:21], v[44:45]
	v_fma_f64 v[44:45], v[94:95], v[22:23], v[44:45]
	v_fma_f64 v[222:223], v[248:249], v[44:45], v[222:223]
	;; [unrolled: 4-line block ×10, first 2 shown]
	buffer_store_dword v44, off, s[28:31], 0 offset:40 ; 4-byte Folded Spill
	s_nop 0
	buffer_store_dword v45, off, s[28:31], 0 offset:44 ; 4-byte Folded Spill
	v_mul_f64 v[44:45], v[62:63], v[34:35]
	v_fma_f64 v[44:45], v[38:39], v[28:29], v[44:45]
	v_fma_f64 v[44:45], v[46:47], v[30:31], v[44:45]
	;; [unrolled: 1-line block ×3, first 2 shown]
	buffer_store_dword v44, off, s[28:31], 0 offset:16 ; 4-byte Folded Spill
	s_nop 0
	buffer_store_dword v45, off, s[28:31], 0 offset:20 ; 4-byte Folded Spill
	v_mul_f64 v[44:45], v[62:63], v[24:25]
	v_fma_f64 v[44:45], v[38:39], v[20:21], v[44:45]
	v_fma_f64 v[44:45], v[46:47], v[22:23], v[44:45]
	v_fma_f64 v[214:215], v[248:249], v[44:45], v[214:215]
	v_mul_f64 v[44:45], v[62:63], v[18:19]
	v_fma_f64 v[44:45], v[38:39], v[10:11], v[44:45]
	v_fma_f64 v[44:45], v[46:47], v[14:15], v[44:45]
	v_fma_f64 v[206:207], v[248:249], v[44:45], v[206:207]
	;; [unrolled: 4-line block ×7, first 2 shown]
	v_mul_f64 v[44:45], v[62:63], v[56:57]
	buffer_load_dword v62, off, s[28:31], 0 offset:384 ; 4-byte Folded Reload
	buffer_load_dword v63, off, s[28:31], 0 offset:388 ; 4-byte Folded Reload
	v_fma_f64 v[38:39], v[38:39], v[12:13], v[44:45]
	buffer_load_dword v44, off, s[28:31], 0 offset:368 ; 4-byte Folded Reload
	buffer_load_dword v45, off, s[28:31], 0 offset:372 ; 4-byte Folded Reload
	v_fma_f64 v[38:39], v[46:47], v[250:251], v[38:39]
	;; [unrolled: 3-line block ×3, first 2 shown]
	v_mul_f64 v[38:39], v[34:35], v[34:35]
	v_fma_f64 v[38:39], v[28:29], v[28:29], v[38:39]
	v_fma_f64 v[38:39], v[30:31], v[30:31], v[38:39]
	;; [unrolled: 1-line block ×3, first 2 shown]
	buffer_store_dword v38, off, s[28:31], 0 offset:8 ; 4-byte Folded Spill
	s_nop 0
	buffer_store_dword v39, off, s[28:31], 0 offset:12 ; 4-byte Folded Spill
	v_mul_f64 v[38:39], v[34:35], v[24:25]
	v_fma_f64 v[38:39], v[28:29], v[20:21], v[38:39]
	v_fma_f64 v[38:39], v[30:31], v[22:23], v[38:39]
	;; [unrolled: 1-line block ×3, first 2 shown]
	buffer_store_dword v38, off, s[28:31], 0 ; 4-byte Folded Spill
	s_nop 0
	buffer_store_dword v39, off, s[28:31], 0 offset:4 ; 4-byte Folded Spill
	v_mul_f64 v[38:39], v[34:35], v[18:19]
	v_fma_f64 v[38:39], v[28:29], v[10:11], v[38:39]
	v_fma_f64 v[38:39], v[30:31], v[14:15], v[38:39]
	v_fma_f64 v[192:193], v[248:249], v[38:39], v[192:193]
	v_mul_f64 v[38:39], v[34:35], v[6:7]
	v_fma_f64 v[38:39], v[28:29], v[64:65], v[38:39]
	v_fma_f64 v[38:39], v[30:31], v[4:5], v[38:39]
	v_fma_f64 v[182:183], v[248:249], v[38:39], v[182:183]
	;; [unrolled: 4-line block ×5, first 2 shown]
	v_mul_f64 v[38:39], v[34:35], v[2:3]
	v_mul_f64 v[34:35], v[34:35], v[56:57]
	v_fma_f64 v[38:39], v[28:29], v[252:253], v[38:39]
	v_fma_f64 v[28:29], v[28:29], v[12:13], v[34:35]
	;; [unrolled: 1-line block ×6, first 2 shown]
	v_mul_f64 v[28:29], v[24:25], v[24:25]
	buffer_load_dword v38, off, s[28:31], 0 offset:424 ; 4-byte Folded Reload
	buffer_load_dword v39, off, s[28:31], 0 offset:428 ; 4-byte Folded Reload
	;; [unrolled: 1-line block ×6, first 2 shown]
	v_fma_f64 v[28:29], v[20:21], v[20:21], v[28:29]
	v_fma_f64 v[28:29], v[22:23], v[22:23], v[28:29]
	v_fma_f64 v[236:237], v[248:249], v[28:29], v[126:127]
	v_mul_f64 v[28:29], v[24:25], v[18:19]
	v_fma_f64 v[28:29], v[20:21], v[10:11], v[28:29]
	v_fma_f64 v[28:29], v[22:23], v[14:15], v[28:29]
	v_fma_f64 v[150:151], v[248:249], v[28:29], v[128:129]
	v_mul_f64 v[28:29], v[24:25], v[6:7]
	;; [unrolled: 4-line block ×6, first 2 shown]
	v_mul_f64 v[24:25], v[24:25], v[56:57]
	v_fma_f64 v[28:29], v[20:21], v[252:253], v[28:29]
	v_fma_f64 v[20:21], v[20:21], v[12:13], v[24:25]
	;; [unrolled: 1-line block ×6, first 2 shown]
	v_mul_f64 v[20:21], v[18:19], v[18:19]
	v_fma_f64 v[20:21], v[10:11], v[10:11], v[20:21]
	v_fma_f64 v[20:21], v[14:15], v[14:15], v[20:21]
	v_fma_f64 v[148:149], v[248:249], v[20:21], v[120:121]
	v_mul_f64 v[20:21], v[18:19], v[6:7]
	v_fma_f64 v[20:21], v[10:11], v[64:65], v[20:21]
	v_fma_f64 v[20:21], v[14:15], v[4:5], v[20:21]
	v_fma_f64 v[144:145], v[248:249], v[20:21], v[122:123]
	;; [unrolled: 4-line block ×5, first 2 shown]
	v_mul_f64 v[20:21], v[18:19], v[2:3]
	v_mul_f64 v[18:19], v[18:19], v[56:57]
	v_fma_f64 v[20:21], v[10:11], v[252:253], v[20:21]
	v_fma_f64 v[10:11], v[10:11], v[12:13], v[18:19]
	;; [unrolled: 1-line block ×6, first 2 shown]
	v_mul_f64 v[10:11], v[6:7], v[6:7]
	v_fma_f64 v[10:11], v[64:65], v[64:65], v[10:11]
	v_fma_f64 v[10:11], v[4:5], v[4:5], v[10:11]
	v_fma_f64 v[134:135], v[248:249], v[10:11], v[112:113]
	v_mul_f64 v[10:11], v[6:7], v[60:61]
	v_fma_f64 v[10:11], v[64:65], v[40:41], v[10:11]
	v_fma_f64 v[10:11], v[4:5], v[50:51], v[10:11]
	v_fma_f64 v[126:127], v[248:249], v[10:11], v[116:117]
	;; [unrolled: 4-line block ×4, first 2 shown]
	v_mul_f64 v[10:11], v[6:7], v[2:3]
	v_mul_f64 v[6:7], v[6:7], v[56:57]
	v_fma_f64 v[10:11], v[64:65], v[252:253], v[10:11]
	v_fma_f64 v[6:7], v[64:65], v[12:13], v[6:7]
	v_fma_f64 v[10:11], v[4:5], v[254:255], v[10:11]
	v_fma_f64 v[4:5], v[4:5], v[250:251], v[6:7]
	v_fma_f64 v[106:107], v[248:249], v[10:11], v[200:201]
	v_fma_f64 v[100:101], v[248:249], v[4:5], v[100:101]
	v_mul_f64 v[4:5], v[60:61], v[60:61]
	buffer_load_dword v10, off, s[28:31], 0 offset:400 ; 4-byte Folded Reload
	buffer_load_dword v11, off, s[28:31], 0 offset:404 ; 4-byte Folded Reload
	;; [unrolled: 1-line block ×4, first 2 shown]
	v_fma_f64 v[4:5], v[40:41], v[40:41], v[4:5]
	v_fma_f64 v[4:5], v[50:51], v[50:51], v[4:5]
	v_fma_f64 v[116:117], v[248:249], v[4:5], v[102:103]
	v_mul_f64 v[4:5], v[60:61], v[36:37]
	v_fma_f64 v[4:5], v[40:41], v[26:27], v[4:5]
	v_fma_f64 v[4:5], v[50:51], v[32:33], v[4:5]
	v_fma_f64 v[110:111], v[248:249], v[4:5], v[104:105]
	v_mul_f64 v[4:5], v[60:61], v[16:17]
	v_fma_f64 v[4:5], v[40:41], v[0:1], v[4:5]
	v_fma_f64 v[4:5], v[50:51], v[8:9], v[4:5]
	v_fma_f64 v[104:105], v[248:249], v[4:5], v[208:209]
	v_mul_f64 v[4:5], v[60:61], v[2:3]
	v_fma_f64 v[4:5], v[40:41], v[252:253], v[4:5]
	v_fma_f64 v[4:5], v[50:51], v[254:255], v[4:5]
	v_fma_f64 v[98:99], v[248:249], v[4:5], v[220:221]
	v_mul_f64 v[4:5], v[60:61], v[56:57]
	buffer_load_dword v60, off, s[28:31], 0 offset:376 ; 4-byte Folded Reload
	buffer_load_dword v61, off, s[28:31], 0 offset:380 ; 4-byte Folded Reload
	v_fma_f64 v[4:5], v[40:41], v[12:13], v[4:5]
	buffer_load_dword v40, off, s[28:31], 0 offset:352 ; 4-byte Folded Reload
	buffer_load_dword v41, off, s[28:31], 0 offset:356 ; 4-byte Folded Reload
	v_fma_f64 v[4:5], v[50:51], v[250:251], v[4:5]
	;; [unrolled: 3-line block ×3, first 2 shown]
	v_mul_f64 v[4:5], v[36:37], v[36:37]
	v_fma_f64 v[4:5], v[26:27], v[26:27], v[4:5]
	v_fma_f64 v[4:5], v[32:33], v[32:33], v[4:5]
	v_fma_f64 v[102:103], v[248:249], v[4:5], v[92:93]
	v_mul_f64 v[4:5], v[36:37], v[16:17]
	v_fma_f64 v[4:5], v[26:27], v[0:1], v[4:5]
	v_fma_f64 v[4:5], v[32:33], v[8:9], v[4:5]
	v_fma_f64 v[92:93], v[248:249], v[4:5], v[96:97]
	;; [unrolled: 4-line block ×3, first 2 shown]
	v_mul_f64 v[4:5], v[36:37], v[56:57]
	buffer_load_dword v36, off, s[28:31], 0 offset:432 ; 4-byte Folded Reload
	buffer_load_dword v37, off, s[28:31], 0 offset:436 ; 4-byte Folded Reload
	v_fma_f64 v[4:5], v[26:27], v[12:13], v[4:5]
	v_fma_f64 v[4:5], v[32:33], v[250:251], v[4:5]
	buffer_load_dword v32, off, s[28:31], 0 offset:416 ; 4-byte Folded Reload
	buffer_load_dword v33, off, s[28:31], 0 offset:420 ; 4-byte Folded Reload
	v_fma_f64 v[54:55], v[248:249], v[4:5], v[72:73]
	v_mul_f64 v[4:5], v[16:17], v[16:17]
	buffer_load_dword v72, off, s[28:31], 0 offset:512 ; 4-byte Folded Reload
	buffer_load_dword v73, off, s[28:31], 0 offset:516 ; 4-byte Folded Reload
	v_fma_f64 v[4:5], v[0:1], v[0:1], v[4:5]
	v_fma_f64 v[4:5], v[8:9], v[8:9], v[4:5]
	;; [unrolled: 1-line block ×3, first 2 shown]
	v_mul_f64 v[4:5], v[16:17], v[2:3]
	v_fma_f64 v[4:5], v[0:1], v[252:253], v[4:5]
	v_fma_f64 v[4:5], v[8:9], v[254:255], v[4:5]
	;; [unrolled: 1-line block ×3, first 2 shown]
	v_mul_f64 v[4:5], v[16:17], v[56:57]
	v_fma_f64 v[0:1], v[0:1], v[12:13], v[4:5]
	v_fma_f64 v[0:1], v[8:9], v[250:251], v[0:1]
	buffer_load_dword v8, off, s[28:31], 0 offset:392 ; 4-byte Folded Reload
	buffer_load_dword v9, off, s[28:31], 0 offset:396 ; 4-byte Folded Reload
	v_fma_f64 v[26:27], v[248:249], v[0:1], v[66:67]
	v_mul_f64 v[0:1], v[2:3], v[2:3]
	buffer_load_dword v66, off, s[28:31], 0 offset:448 ; 4-byte Folded Reload
	buffer_load_dword v67, off, s[28:31], 0 offset:452 ; 4-byte Folded Reload
	v_fma_f64 v[0:1], v[252:253], v[252:253], v[0:1]
	v_fma_f64 v[0:1], v[254:255], v[254:255], v[0:1]
	;; [unrolled: 1-line block ×3, first 2 shown]
	v_mul_f64 v[0:1], v[2:3], v[56:57]
	buffer_load_dword v68, off, s[28:31], 0 offset:456 ; 4-byte Folded Reload
	buffer_load_dword v69, off, s[28:31], 0 offset:460 ; 4-byte Folded Reload
	v_fma_f64 v[0:1], v[252:253], v[12:13], v[0:1]
	v_fma_f64 v[0:1], v[254:255], v[250:251], v[0:1]
	;; [unrolled: 1-line block ×3, first 2 shown]
	v_mul_f64 v[0:1], v[56:57], v[56:57]
	buffer_load_dword v52, off, s[28:31], 0 offset:480 ; 4-byte Folded Reload
	buffer_load_dword v53, off, s[28:31], 0 offset:484 ; 4-byte Folded Reload
	buffer_load_dword v56, off, s[28:31], 0 offset:496 ; 4-byte Folded Reload
	buffer_load_dword v57, off, s[28:31], 0 offset:500 ; 4-byte Folded Reload
	v_fma_f64 v[0:1], v[12:13], v[12:13], v[0:1]
	buffer_load_dword v12, off, s[28:31], 0 offset:408 ; 4-byte Folded Reload
	buffer_load_dword v13, off, s[28:31], 0 offset:412 ; 4-byte Folded Reload
	v_fma_f64 v[0:1], v[250:251], v[250:251], v[0:1]
	v_fma_f64 v[96:97], v[248:249], v[0:1], v[42:43]
	buffer_load_dword v42, off, s[28:31], 0 offset:360 ; 4-byte Folded Reload
	buffer_load_dword v43, off, s[28:31], 0 offset:364 ; 4-byte Folded Reload
	s_cbranch_vccz .LBB2_4
; %bb.5:                                ;   in Loop: Header=BB2_3 Depth=2
	buffer_load_dword v86, off, s[28:31], 0 offset:32 ; 4-byte Folded Reload
	buffer_load_dword v87, off, s[28:31], 0 offset:36 ; 4-byte Folded Reload
	;; [unrolled: 1-line block ×10, first 2 shown]
	buffer_load_dword v80, off, s[28:31], 0 ; 4-byte Folded Reload
	buffer_load_dword v81, off, s[28:31], 0 offset:4 ; 4-byte Folded Reload
	s_mov_b64 s[0:1], 0
	s_and_b64 vcc, exec, s[14:15]
	s_cbranch_vccnz .LBB2_7
; %bb.6:                                ;   in Loop: Header=BB2_3 Depth=2
	s_mov_b64 s[12:13], s[6:7]
	s_branch .LBB2_3
.LBB2_7:                                ;   in Loop: Header=BB2_2 Depth=1
	s_and_b64 vcc, exec, s[10:11]
	s_cbranch_vccnz .LBB2_9
; %bb.8:                                ;   in Loop: Header=BB2_2 Depth=1
	s_mov_b64 s[8:9], s[6:7]
	s_branch .LBB2_2
.LBB2_9:
	v_add_f64 v[0:1], v[244:245], 0
	v_add_f64 v[2:3], v[242:243], 0
	;; [unrolled: 1-line block ×4, first 2 shown]
	s_waitcnt vmcnt(24)
	v_add_f64 v[8:9], v[234:235], 0
	v_add_f64 v[10:11], v[230:231], 0
	s_waitcnt vmcnt(14)
	v_add_f64 v[12:13], v[224:225], 0
	v_add_f64 v[14:15], v[218:219], 0
	v_add_f64 v[0:1], v[242:243], v[0:1]
	s_waitcnt vmcnt(10)
	v_add_f64 v[2:3], v[86:87], v[2:3]
	s_waitcnt vmcnt(8)
	v_add_f64 v[4:5], v[156:157], v[4:5]
	v_add_f64 v[6:7], v[228:229], v[6:7]
	v_add_f64 v[8:9], v[222:223], v[8:9]
	v_add_f64 v[10:11], v[216:217], v[10:11]
	v_add_f64 v[12:13], v[210:211], v[12:13]
	v_add_f64 v[16:17], v[212:213], 0
	v_add_f64 v[0:1], v[240:241], v[0:1]
	v_add_f64 v[2:3], v[156:157], v[2:3]
	s_waitcnt vmcnt(6)
	v_add_f64 v[4:5], v[88:89], v[4:5]
	s_waitcnt vmcnt(4)
	v_add_f64 v[6:7], v[152:153], v[6:7]
	v_add_f64 v[8:9], v[214:215], v[8:9]
	v_add_f64 v[10:11], v[206:207], v[10:11]
	v_add_f64 v[14:15], v[202:203], v[14:15]
	v_add_f64 v[12:13], v[198:199], v[12:13]
	;; [unrolled: 11-line block ×3, first 2 shown]
	v_add_f64 v[2:3], v[222:223], v[2:3]
	v_add_f64 v[4:5], v[214:215], v[4:5]
	;; [unrolled: 1-line block ×119, first 2 shown]
	buffer_load_dword v4, off, s[28:31], 0 offset:632 ; 4-byte Folded Reload
	buffer_load_dword v5, off, s[28:31], 0 offset:636 ; 4-byte Folded Reload
	v_add_f64 v[6:7], v[26:27], v[6:7]
	v_add_f64 v[2:3], v[24:25], v[6:7]
	;; [unrolled: 1-line block ×4, first 2 shown]
	v_mov_b32_e32 v3, s25
	s_waitcnt vmcnt(1)
	v_add_co_u32_e32 v2, vcc, s24, v4
	s_waitcnt vmcnt(0)
	v_addc_co_u32_e32 v3, vcc, v3, v5, vcc
	global_store_dwordx2 v[2:3], v[0:1], off
.LBB2_10:
	s_endpgm
	.section	.rodata,"a",@progbits
	.p2align	6, 0x0
	.amdhsa_kernel _ZN4RAJA6policy3hip4impl18forallp_hip_kernelINS1_8hip_execINS_17iteration_mapping6DirectENS_3hip11IndexGlobalILNS_9named_dimE0ELi256ELi0EEENS7_40AvoidDeviceMaxThreadOccupancyConcretizerINS7_34FractionOffsetOccupancyConcretizerINS_8FractionImLm1ELm1EEELln1EEEEELb1EEENS_9Iterators16numeric_iteratorIllPlEEZN8rajaperf4apps6EDGE3D17runHipVariantImplILm256EEEvNSM_9VariantIDEEUllE0_lNS_4expt15ForallParamPackIJEEES6_SA_TnNSt9enable_ifIXaasr3std10is_base_ofINS5_10DirectBaseET4_EE5valuegtsrT5_10block_sizeLi0EEmE4typeELm256EEEvT1_T0_T2_T3_
		.amdhsa_group_segment_fixed_size 0
		.amdhsa_private_segment_fixed_size 644
		.amdhsa_kernarg_size 220
		.amdhsa_user_sgpr_count 6
		.amdhsa_user_sgpr_private_segment_buffer 1
		.amdhsa_user_sgpr_dispatch_ptr 0
		.amdhsa_user_sgpr_queue_ptr 0
		.amdhsa_user_sgpr_kernarg_segment_ptr 1
		.amdhsa_user_sgpr_dispatch_id 0
		.amdhsa_user_sgpr_flat_scratch_init 0
		.amdhsa_user_sgpr_private_segment_size 0
		.amdhsa_uses_dynamic_stack 0
		.amdhsa_system_sgpr_private_segment_wavefront_offset 1
		.amdhsa_system_sgpr_workgroup_id_x 1
		.amdhsa_system_sgpr_workgroup_id_y 0
		.amdhsa_system_sgpr_workgroup_id_z 0
		.amdhsa_system_sgpr_workgroup_info 0
		.amdhsa_system_vgpr_workitem_id 0
		.amdhsa_next_free_vgpr 256
		.amdhsa_next_free_sgpr 52
		.amdhsa_reserve_vcc 1
		.amdhsa_reserve_flat_scratch 0
		.amdhsa_float_round_mode_32 0
		.amdhsa_float_round_mode_16_64 0
		.amdhsa_float_denorm_mode_32 3
		.amdhsa_float_denorm_mode_16_64 3
		.amdhsa_dx10_clamp 1
		.amdhsa_ieee_mode 1
		.amdhsa_fp16_overflow 0
		.amdhsa_exception_fp_ieee_invalid_op 0
		.amdhsa_exception_fp_denorm_src 0
		.amdhsa_exception_fp_ieee_div_zero 0
		.amdhsa_exception_fp_ieee_overflow 0
		.amdhsa_exception_fp_ieee_underflow 0
		.amdhsa_exception_fp_ieee_inexact 0
		.amdhsa_exception_int_div_zero 0
	.end_amdhsa_kernel
	.section	.text._ZN4RAJA6policy3hip4impl18forallp_hip_kernelINS1_8hip_execINS_17iteration_mapping6DirectENS_3hip11IndexGlobalILNS_9named_dimE0ELi256ELi0EEENS7_40AvoidDeviceMaxThreadOccupancyConcretizerINS7_34FractionOffsetOccupancyConcretizerINS_8FractionImLm1ELm1EEELln1EEEEELb1EEENS_9Iterators16numeric_iteratorIllPlEEZN8rajaperf4apps6EDGE3D17runHipVariantImplILm256EEEvNSM_9VariantIDEEUllE0_lNS_4expt15ForallParamPackIJEEES6_SA_TnNSt9enable_ifIXaasr3std10is_base_ofINS5_10DirectBaseET4_EE5valuegtsrT5_10block_sizeLi0EEmE4typeELm256EEEvT1_T0_T2_T3_,"axG",@progbits,_ZN4RAJA6policy3hip4impl18forallp_hip_kernelINS1_8hip_execINS_17iteration_mapping6DirectENS_3hip11IndexGlobalILNS_9named_dimE0ELi256ELi0EEENS7_40AvoidDeviceMaxThreadOccupancyConcretizerINS7_34FractionOffsetOccupancyConcretizerINS_8FractionImLm1ELm1EEELln1EEEEELb1EEENS_9Iterators16numeric_iteratorIllPlEEZN8rajaperf4apps6EDGE3D17runHipVariantImplILm256EEEvNSM_9VariantIDEEUllE0_lNS_4expt15ForallParamPackIJEEES6_SA_TnNSt9enable_ifIXaasr3std10is_base_ofINS5_10DirectBaseET4_EE5valuegtsrT5_10block_sizeLi0EEmE4typeELm256EEEvT1_T0_T2_T3_,comdat
.Lfunc_end2:
	.size	_ZN4RAJA6policy3hip4impl18forallp_hip_kernelINS1_8hip_execINS_17iteration_mapping6DirectENS_3hip11IndexGlobalILNS_9named_dimE0ELi256ELi0EEENS7_40AvoidDeviceMaxThreadOccupancyConcretizerINS7_34FractionOffsetOccupancyConcretizerINS_8FractionImLm1ELm1EEELln1EEEEELb1EEENS_9Iterators16numeric_iteratorIllPlEEZN8rajaperf4apps6EDGE3D17runHipVariantImplILm256EEEvNSM_9VariantIDEEUllE0_lNS_4expt15ForallParamPackIJEEES6_SA_TnNSt9enable_ifIXaasr3std10is_base_ofINS5_10DirectBaseET4_EE5valuegtsrT5_10block_sizeLi0EEmE4typeELm256EEEvT1_T0_T2_T3_, .Lfunc_end2-_ZN4RAJA6policy3hip4impl18forallp_hip_kernelINS1_8hip_execINS_17iteration_mapping6DirectENS_3hip11IndexGlobalILNS_9named_dimE0ELi256ELi0EEENS7_40AvoidDeviceMaxThreadOccupancyConcretizerINS7_34FractionOffsetOccupancyConcretizerINS_8FractionImLm1ELm1EEELln1EEEEELb1EEENS_9Iterators16numeric_iteratorIllPlEEZN8rajaperf4apps6EDGE3D17runHipVariantImplILm256EEEvNSM_9VariantIDEEUllE0_lNS_4expt15ForallParamPackIJEEES6_SA_TnNSt9enable_ifIXaasr3std10is_base_ofINS5_10DirectBaseET4_EE5valuegtsrT5_10block_sizeLi0EEmE4typeELm256EEEvT1_T0_T2_T3_
                                        ; -- End function
	.set _ZN4RAJA6policy3hip4impl18forallp_hip_kernelINS1_8hip_execINS_17iteration_mapping6DirectENS_3hip11IndexGlobalILNS_9named_dimE0ELi256ELi0EEENS7_40AvoidDeviceMaxThreadOccupancyConcretizerINS7_34FractionOffsetOccupancyConcretizerINS_8FractionImLm1ELm1EEELln1EEEEELb1EEENS_9Iterators16numeric_iteratorIllPlEEZN8rajaperf4apps6EDGE3D17runHipVariantImplILm256EEEvNSM_9VariantIDEEUllE0_lNS_4expt15ForallParamPackIJEEES6_SA_TnNSt9enable_ifIXaasr3std10is_base_ofINS5_10DirectBaseET4_EE5valuegtsrT5_10block_sizeLi0EEmE4typeELm256EEEvT1_T0_T2_T3_.num_vgpr, 256
	.set _ZN4RAJA6policy3hip4impl18forallp_hip_kernelINS1_8hip_execINS_17iteration_mapping6DirectENS_3hip11IndexGlobalILNS_9named_dimE0ELi256ELi0EEENS7_40AvoidDeviceMaxThreadOccupancyConcretizerINS7_34FractionOffsetOccupancyConcretizerINS_8FractionImLm1ELm1EEELln1EEEEELb1EEENS_9Iterators16numeric_iteratorIllPlEEZN8rajaperf4apps6EDGE3D17runHipVariantImplILm256EEEvNSM_9VariantIDEEUllE0_lNS_4expt15ForallParamPackIJEEES6_SA_TnNSt9enable_ifIXaasr3std10is_base_ofINS5_10DirectBaseET4_EE5valuegtsrT5_10block_sizeLi0EEmE4typeELm256EEEvT1_T0_T2_T3_.num_agpr, 0
	.set _ZN4RAJA6policy3hip4impl18forallp_hip_kernelINS1_8hip_execINS_17iteration_mapping6DirectENS_3hip11IndexGlobalILNS_9named_dimE0ELi256ELi0EEENS7_40AvoidDeviceMaxThreadOccupancyConcretizerINS7_34FractionOffsetOccupancyConcretizerINS_8FractionImLm1ELm1EEELln1EEEEELb1EEENS_9Iterators16numeric_iteratorIllPlEEZN8rajaperf4apps6EDGE3D17runHipVariantImplILm256EEEvNSM_9VariantIDEEUllE0_lNS_4expt15ForallParamPackIJEEES6_SA_TnNSt9enable_ifIXaasr3std10is_base_ofINS5_10DirectBaseET4_EE5valuegtsrT5_10block_sizeLi0EEmE4typeELm256EEEvT1_T0_T2_T3_.numbered_sgpr, 52
	.set _ZN4RAJA6policy3hip4impl18forallp_hip_kernelINS1_8hip_execINS_17iteration_mapping6DirectENS_3hip11IndexGlobalILNS_9named_dimE0ELi256ELi0EEENS7_40AvoidDeviceMaxThreadOccupancyConcretizerINS7_34FractionOffsetOccupancyConcretizerINS_8FractionImLm1ELm1EEELln1EEEEELb1EEENS_9Iterators16numeric_iteratorIllPlEEZN8rajaperf4apps6EDGE3D17runHipVariantImplILm256EEEvNSM_9VariantIDEEUllE0_lNS_4expt15ForallParamPackIJEEES6_SA_TnNSt9enable_ifIXaasr3std10is_base_ofINS5_10DirectBaseET4_EE5valuegtsrT5_10block_sizeLi0EEmE4typeELm256EEEvT1_T0_T2_T3_.num_named_barrier, 0
	.set _ZN4RAJA6policy3hip4impl18forallp_hip_kernelINS1_8hip_execINS_17iteration_mapping6DirectENS_3hip11IndexGlobalILNS_9named_dimE0ELi256ELi0EEENS7_40AvoidDeviceMaxThreadOccupancyConcretizerINS7_34FractionOffsetOccupancyConcretizerINS_8FractionImLm1ELm1EEELln1EEEEELb1EEENS_9Iterators16numeric_iteratorIllPlEEZN8rajaperf4apps6EDGE3D17runHipVariantImplILm256EEEvNSM_9VariantIDEEUllE0_lNS_4expt15ForallParamPackIJEEES6_SA_TnNSt9enable_ifIXaasr3std10is_base_ofINS5_10DirectBaseET4_EE5valuegtsrT5_10block_sizeLi0EEmE4typeELm256EEEvT1_T0_T2_T3_.private_seg_size, 644
	.set _ZN4RAJA6policy3hip4impl18forallp_hip_kernelINS1_8hip_execINS_17iteration_mapping6DirectENS_3hip11IndexGlobalILNS_9named_dimE0ELi256ELi0EEENS7_40AvoidDeviceMaxThreadOccupancyConcretizerINS7_34FractionOffsetOccupancyConcretizerINS_8FractionImLm1ELm1EEELln1EEEEELb1EEENS_9Iterators16numeric_iteratorIllPlEEZN8rajaperf4apps6EDGE3D17runHipVariantImplILm256EEEvNSM_9VariantIDEEUllE0_lNS_4expt15ForallParamPackIJEEES6_SA_TnNSt9enable_ifIXaasr3std10is_base_ofINS5_10DirectBaseET4_EE5valuegtsrT5_10block_sizeLi0EEmE4typeELm256EEEvT1_T0_T2_T3_.uses_vcc, 1
	.set _ZN4RAJA6policy3hip4impl18forallp_hip_kernelINS1_8hip_execINS_17iteration_mapping6DirectENS_3hip11IndexGlobalILNS_9named_dimE0ELi256ELi0EEENS7_40AvoidDeviceMaxThreadOccupancyConcretizerINS7_34FractionOffsetOccupancyConcretizerINS_8FractionImLm1ELm1EEELln1EEEEELb1EEENS_9Iterators16numeric_iteratorIllPlEEZN8rajaperf4apps6EDGE3D17runHipVariantImplILm256EEEvNSM_9VariantIDEEUllE0_lNS_4expt15ForallParamPackIJEEES6_SA_TnNSt9enable_ifIXaasr3std10is_base_ofINS5_10DirectBaseET4_EE5valuegtsrT5_10block_sizeLi0EEmE4typeELm256EEEvT1_T0_T2_T3_.uses_flat_scratch, 0
	.set _ZN4RAJA6policy3hip4impl18forallp_hip_kernelINS1_8hip_execINS_17iteration_mapping6DirectENS_3hip11IndexGlobalILNS_9named_dimE0ELi256ELi0EEENS7_40AvoidDeviceMaxThreadOccupancyConcretizerINS7_34FractionOffsetOccupancyConcretizerINS_8FractionImLm1ELm1EEELln1EEEEELb1EEENS_9Iterators16numeric_iteratorIllPlEEZN8rajaperf4apps6EDGE3D17runHipVariantImplILm256EEEvNSM_9VariantIDEEUllE0_lNS_4expt15ForallParamPackIJEEES6_SA_TnNSt9enable_ifIXaasr3std10is_base_ofINS5_10DirectBaseET4_EE5valuegtsrT5_10block_sizeLi0EEmE4typeELm256EEEvT1_T0_T2_T3_.has_dyn_sized_stack, 0
	.set _ZN4RAJA6policy3hip4impl18forallp_hip_kernelINS1_8hip_execINS_17iteration_mapping6DirectENS_3hip11IndexGlobalILNS_9named_dimE0ELi256ELi0EEENS7_40AvoidDeviceMaxThreadOccupancyConcretizerINS7_34FractionOffsetOccupancyConcretizerINS_8FractionImLm1ELm1EEELln1EEEEELb1EEENS_9Iterators16numeric_iteratorIllPlEEZN8rajaperf4apps6EDGE3D17runHipVariantImplILm256EEEvNSM_9VariantIDEEUllE0_lNS_4expt15ForallParamPackIJEEES6_SA_TnNSt9enable_ifIXaasr3std10is_base_ofINS5_10DirectBaseET4_EE5valuegtsrT5_10block_sizeLi0EEmE4typeELm256EEEvT1_T0_T2_T3_.has_recursion, 0
	.set _ZN4RAJA6policy3hip4impl18forallp_hip_kernelINS1_8hip_execINS_17iteration_mapping6DirectENS_3hip11IndexGlobalILNS_9named_dimE0ELi256ELi0EEENS7_40AvoidDeviceMaxThreadOccupancyConcretizerINS7_34FractionOffsetOccupancyConcretizerINS_8FractionImLm1ELm1EEELln1EEEEELb1EEENS_9Iterators16numeric_iteratorIllPlEEZN8rajaperf4apps6EDGE3D17runHipVariantImplILm256EEEvNSM_9VariantIDEEUllE0_lNS_4expt15ForallParamPackIJEEES6_SA_TnNSt9enable_ifIXaasr3std10is_base_ofINS5_10DirectBaseET4_EE5valuegtsrT5_10block_sizeLi0EEmE4typeELm256EEEvT1_T0_T2_T3_.has_indirect_call, 0
	.section	.AMDGPU.csdata,"",@progbits
; Kernel info:
; codeLenInByte = 13652
; TotalNumSgprs: 56
; NumVgprs: 256
; ScratchSize: 644
; MemoryBound: 0
; FloatMode: 240
; IeeeMode: 1
; LDSByteSize: 0 bytes/workgroup (compile time only)
; SGPRBlocks: 6
; VGPRBlocks: 63
; NumSGPRsForWavesPerEU: 56
; NumVGPRsForWavesPerEU: 256
; Occupancy: 1
; WaveLimiterHint : 0
; COMPUTE_PGM_RSRC2:SCRATCH_EN: 1
; COMPUTE_PGM_RSRC2:USER_SGPR: 6
; COMPUTE_PGM_RSRC2:TRAP_HANDLER: 0
; COMPUTE_PGM_RSRC2:TGID_X_EN: 1
; COMPUTE_PGM_RSRC2:TGID_Y_EN: 0
; COMPUTE_PGM_RSRC2:TGID_Z_EN: 0
; COMPUTE_PGM_RSRC2:TIDIG_COMP_CNT: 0
	.section	.AMDGPU.gpr_maximums,"",@progbits
	.set amdgpu.max_num_vgpr, 0
	.set amdgpu.max_num_agpr, 0
	.set amdgpu.max_num_sgpr, 0
	.section	.AMDGPU.csdata,"",@progbits
	.type	__hip_cuid_5bfcf512a27c49a6,@object ; @__hip_cuid_5bfcf512a27c49a6
	.section	.bss,"aw",@nobits
	.globl	__hip_cuid_5bfcf512a27c49a6
__hip_cuid_5bfcf512a27c49a6:
	.byte	0                               ; 0x0
	.size	__hip_cuid_5bfcf512a27c49a6, 1

	.ident	"AMD clang version 22.0.0git (https://github.com/RadeonOpenCompute/llvm-project roc-7.2.4 26084 f58b06dce1f9c15707c5f808fd002e18c2accf7e)"
	.section	".note.GNU-stack","",@progbits
	.addrsig
	.addrsig_sym __hip_cuid_5bfcf512a27c49a6
	.amdgpu_metadata
---
amdhsa.kernels:
  - .args:
      - .address_space:  global
        .offset:         0
        .size:           8
        .value_kind:     global_buffer
      - .address_space:  global
        .offset:         8
        .size:           8
        .value_kind:     global_buffer
      - .address_space:  global
        .offset:         16
        .size:           8
        .value_kind:     global_buffer
      - .address_space:  global
        .offset:         24
        .size:           8
        .value_kind:     global_buffer
      - .address_space:  global
        .offset:         32
        .size:           8
        .value_kind:     global_buffer
      - .address_space:  global
        .offset:         40
        .size:           8
        .value_kind:     global_buffer
      - .address_space:  global
        .offset:         48
        .size:           8
        .value_kind:     global_buffer
      - .address_space:  global
        .offset:         56
        .size:           8
        .value_kind:     global_buffer
      - .address_space:  global
        .offset:         64
        .size:           8
        .value_kind:     global_buffer
      - .address_space:  global
        .offset:         72
        .size:           8
        .value_kind:     global_buffer
      - .address_space:  global
        .offset:         80
        .size:           8
        .value_kind:     global_buffer
      - .address_space:  global
        .offset:         88
        .size:           8
        .value_kind:     global_buffer
      - .address_space:  global
        .offset:         96
        .size:           8
        .value_kind:     global_buffer
      - .address_space:  global
        .offset:         104
        .size:           8
        .value_kind:     global_buffer
      - .address_space:  global
        .offset:         112
        .size:           8
        .value_kind:     global_buffer
      - .address_space:  global
        .offset:         120
        .size:           8
        .value_kind:     global_buffer
      - .address_space:  global
        .offset:         128
        .size:           8
        .value_kind:     global_buffer
      - .address_space:  global
        .offset:         136
        .size:           8
        .value_kind:     global_buffer
      - .address_space:  global
        .offset:         144
        .size:           8
        .value_kind:     global_buffer
      - .address_space:  global
        .offset:         152
        .size:           8
        .value_kind:     global_buffer
      - .address_space:  global
        .offset:         160
        .size:           8
        .value_kind:     global_buffer
      - .address_space:  global
        .offset:         168
        .size:           8
        .value_kind:     global_buffer
      - .address_space:  global
        .offset:         176
        .size:           8
        .value_kind:     global_buffer
      - .address_space:  global
        .offset:         184
        .size:           8
        .value_kind:     global_buffer
      - .address_space:  global
        .offset:         192
        .size:           8
        .value_kind:     global_buffer
      - .offset:         200
        .size:           8
        .value_kind:     by_value
      - .offset:         208
        .size:           8
        .value_kind:     by_value
    .group_segment_fixed_size: 0
    .kernarg_segment_align: 8
    .kernarg_segment_size: 216
    .language:       OpenCL C
    .language_version:
      - 2
      - 0
    .max_flat_workgroup_size: 256
    .name:           _ZN8rajaperf4apps6edge3dILm256EEEvPdS2_S2_S2_S2_S2_S2_S2_S2_S2_S2_S2_S2_S2_S2_S2_S2_S2_S2_S2_S2_S2_S2_S2_S2_ll
    .private_segment_fixed_size: 644
    .sgpr_count:     56
    .sgpr_spill_count: 0
    .symbol:         _ZN8rajaperf4apps6edge3dILm256EEEvPdS2_S2_S2_S2_S2_S2_S2_S2_S2_S2_S2_S2_S2_S2_S2_S2_S2_S2_S2_S2_S2_S2_S2_S2_ll.kd
    .uniform_work_group_size: 1
    .uses_dynamic_stack: false
    .vgpr_count:     256
    .vgpr_spill_count: 172
    .wavefront_size: 64
  - .args:
      - .offset:         0
        .size:           8
        .value_kind:     by_value
      - .offset:         8
        .size:           8
        .value_kind:     by_value
      - .offset:         16
        .size:           200
        .value_kind:     by_value
    .group_segment_fixed_size: 0
    .kernarg_segment_align: 8
    .kernarg_segment_size: 216
    .language:       OpenCL C
    .language_version:
      - 2
      - 0
    .max_flat_workgroup_size: 256
    .name:           _ZN8rajaperf17lambda_hip_forallILm256EZNS_4apps6EDGE3D17runHipVariantImplILm256EEEvNS_9VariantIDEEUllE_EEvllT0_
    .private_segment_fixed_size: 644
    .sgpr_count:     56
    .sgpr_spill_count: 0
    .symbol:         _ZN8rajaperf17lambda_hip_forallILm256EZNS_4apps6EDGE3D17runHipVariantImplILm256EEEvNS_9VariantIDEEUllE_EEvllT0_.kd
    .uniform_work_group_size: 1
    .uses_dynamic_stack: false
    .vgpr_count:     256
    .vgpr_spill_count: 172
    .wavefront_size: 64
  - .args:
      - .offset:         0
        .size:           200
        .value_kind:     by_value
      - .offset:         200
        .size:           8
        .value_kind:     by_value
      - .offset:         208
        .size:           8
        .value_kind:     by_value
      - .offset:         216
        .size:           1
        .value_kind:     by_value
    .group_segment_fixed_size: 0
    .kernarg_segment_align: 8
    .kernarg_segment_size: 220
    .language:       OpenCL C
    .language_version:
      - 2
      - 0
    .max_flat_workgroup_size: 256
    .name:           _ZN4RAJA6policy3hip4impl18forallp_hip_kernelINS1_8hip_execINS_17iteration_mapping6DirectENS_3hip11IndexGlobalILNS_9named_dimE0ELi256ELi0EEENS7_40AvoidDeviceMaxThreadOccupancyConcretizerINS7_34FractionOffsetOccupancyConcretizerINS_8FractionImLm1ELm1EEELln1EEEEELb1EEENS_9Iterators16numeric_iteratorIllPlEEZN8rajaperf4apps6EDGE3D17runHipVariantImplILm256EEEvNSM_9VariantIDEEUllE0_lNS_4expt15ForallParamPackIJEEES6_SA_TnNSt9enable_ifIXaasr3std10is_base_ofINS5_10DirectBaseET4_EE5valuegtsrT5_10block_sizeLi0EEmE4typeELm256EEEvT1_T0_T2_T3_
    .private_segment_fixed_size: 644
    .sgpr_count:     56
    .sgpr_spill_count: 0
    .symbol:         _ZN4RAJA6policy3hip4impl18forallp_hip_kernelINS1_8hip_execINS_17iteration_mapping6DirectENS_3hip11IndexGlobalILNS_9named_dimE0ELi256ELi0EEENS7_40AvoidDeviceMaxThreadOccupancyConcretizerINS7_34FractionOffsetOccupancyConcretizerINS_8FractionImLm1ELm1EEELln1EEEEELb1EEENS_9Iterators16numeric_iteratorIllPlEEZN8rajaperf4apps6EDGE3D17runHipVariantImplILm256EEEvNSM_9VariantIDEEUllE0_lNS_4expt15ForallParamPackIJEEES6_SA_TnNSt9enable_ifIXaasr3std10is_base_ofINS5_10DirectBaseET4_EE5valuegtsrT5_10block_sizeLi0EEmE4typeELm256EEEvT1_T0_T2_T3_.kd
    .uniform_work_group_size: 1
    .uses_dynamic_stack: false
    .vgpr_count:     256
    .vgpr_spill_count: 172
    .wavefront_size: 64
amdhsa.target:   amdgcn-amd-amdhsa--gfx906
amdhsa.version:
  - 1
  - 2
...

	.end_amdgpu_metadata
